;; amdgpu-corpus repo=ROCm/rocFFT kind=compiled arch=gfx950 opt=O3
	.text
	.amdgcn_target "amdgcn-amd-amdhsa--gfx950"
	.amdhsa_code_object_version 6
	.protected	bluestein_single_back_len2040_dim1_sp_op_CI_CI ; -- Begin function bluestein_single_back_len2040_dim1_sp_op_CI_CI
	.globl	bluestein_single_back_len2040_dim1_sp_op_CI_CI
	.p2align	8
	.type	bluestein_single_back_len2040_dim1_sp_op_CI_CI,@function
bluestein_single_back_len2040_dim1_sp_op_CI_CI: ; @bluestein_single_back_len2040_dim1_sp_op_CI_CI
; %bb.0:
	s_load_dwordx4 s[8:11], s[0:1], 0x28
	v_mul_u32_u24_e32 v1, 0x182, v0
	v_mov_b32_e32 v77, 0
	v_add_u32_sdwa v2, s2, v1 dst_sel:DWORD dst_unused:UNUSED_PAD src0_sel:DWORD src1_sel:WORD_1
	v_mov_b32_e32 v3, v77
	v_accvgpr_write_b32 a2, v2
	s_waitcnt lgkmcnt(0)
	v_cmp_gt_u64_e32 vcc, s[8:9], v[2:3]
	s_and_saveexec_b64 s[2:3], vcc
	s_cbranch_execz .LBB0_23
; %bb.1:
	s_load_dwordx2 s[8:9], s[0:1], 0x0
	s_load_dwordx2 s[12:13], s[0:1], 0x38
	s_movk_i32 s2, 0xaa
	v_mul_lo_u16_sdwa v1, v1, s2 dst_sel:DWORD dst_unused:UNUSED_PAD src0_sel:WORD_1 src1_sel:DWORD
	v_sub_u16_e32 v76, v0, v1
	s_movk_i32 s2, 0x78
	v_cmp_gt_u16_e32 vcc, s2, v76
	v_lshlrev_b32_e32 v110, 3, v76
	s_and_saveexec_b64 s[14:15], vcc
	s_cbranch_execz .LBB0_3
; %bb.2:
	s_load_dwordx2 s[2:3], s[0:1], 0x18
	v_accvgpr_read_b32 v10, a2
	v_mov_b32_e32 v0, s10
	v_mov_b32_e32 v1, s11
	;; [unrolled: 1-line block ×3, first 2 shown]
	s_waitcnt lgkmcnt(0)
	s_load_dwordx4 s[4:7], s[2:3], 0x0
	v_mov_b32_e32 v111, 0
	v_lshl_add_u64 v[20:21], s[8:9], 0, v[110:111]
	v_or_b32_e32 v74, 0x780, v76
	v_lshlrev_b32_e32 v38, 3, v74
	s_waitcnt lgkmcnt(0)
	v_mad_u64_u32 v[2:3], s[2:3], s6, v10, 0
	v_mad_u64_u32 v[4:5], s[2:3], s4, v76, 0
	v_mov_b32_e32 v6, v3
	v_mov_b32_e32 v8, v5
	v_mad_u64_u32 v[6:7], s[2:3], s7, v10, v[6:7]
	v_mov_b32_e32 v3, v6
	v_mad_u64_u32 v[6:7], s[2:3], s5, v76, v[8:9]
	v_mov_b32_e32 v5, v6
	v_lshl_add_u64 v[2:3], v[2:3], 3, v[0:1]
	v_lshl_add_u64 v[4:5], v[4:5], 3, v[2:3]
	v_mad_u64_u32 v[6:7], s[2:3], s4, v70, v[4:5]
	s_mul_i32 s6, s5, 0x3c0
	v_add_u32_e32 v7, s6, v7
	v_mad_u64_u32 v[16:17], s[2:3], s4, v70, v[6:7]
	v_add_u32_e32 v17, s6, v17
	v_mad_u64_u32 v[18:19], s[2:3], s4, v70, v[16:17]
	s_movk_i32 s2, 0x1000
	s_nop 0
	v_add_co_u32_e64 v22, s[2:3], s2, v20
	s_movk_i32 s7, 0x2000
	s_nop 0
	v_addc_co_u32_e64 v23, s[2:3], 0, v21, s[2:3]
	v_add_u32_e32 v19, s6, v19
	v_add_co_u32_e64 v24, s[2:3], s7, v20
	global_load_dwordx2 v[0:1], v[4:5], off
	s_nop 0
	v_addc_co_u32_e64 v25, s[2:3], 0, v21, s[2:3]
	global_load_dwordx2 v[4:5], v[6:7], off
	global_load_dwordx2 v[10:11], v110, s[8:9]
	global_load_dwordx2 v[8:9], v110, s[8:9] offset:960
	s_nop 0
	global_load_dwordx2 v[6:7], v110, s[8:9] offset:1920
	global_load_dwordx2 v[12:13], v110, s[8:9] offset:2880
	;; [unrolled: 1-line block ×3, first 2 shown]
	global_load_dwordx2 v[26:27], v38, s[8:9]
	global_load_dwordx2 v[28:29], v[22:23], off offset:704
	global_load_dwordx2 v[30:31], v[22:23], off offset:1664
	;; [unrolled: 1-line block ×4, first 2 shown]
	global_load_dwordx2 v[36:37], v[16:17], off
	v_mad_u64_u32 v[16:17], s[2:3], s4, v70, v[18:19]
	v_add_u32_e32 v17, s6, v17
	global_load_dwordx2 v[22:23], v[18:19], off
	global_load_dwordx2 v[38:39], v[16:17], off
	v_mad_u64_u32 v[16:17], s[2:3], s4, v70, v[16:17]
	v_add_u32_e32 v17, s6, v17
	global_load_dwordx2 v[18:19], v[16:17], off
	v_mad_u64_u32 v[16:17], s[2:3], s4, v70, v[16:17]
	v_add_u32_e32 v17, s6, v17
	global_load_dwordx2 v[40:41], v[16:17], off
	v_mad_u64_u32 v[16:17], s[2:3], s4, v70, v[16:17]
	v_add_u32_e32 v17, s6, v17
	global_load_dwordx2 v[42:43], v[16:17], off
	v_mad_u64_u32 v[16:17], s[2:3], s4, v70, v[16:17]
	v_add_u32_e32 v17, s6, v17
	global_load_dwordx2 v[44:45], v[16:17], off
	v_mad_u64_u32 v[16:17], s[2:3], s4, v70, v[16:17]
	v_add_u32_e32 v17, s6, v17
	global_load_dwordx2 v[46:47], v[16:17], off
	v_mad_u64_u32 v[16:17], s[2:3], s4, v70, v[16:17]
	v_add_u32_e32 v17, s6, v17
	global_load_dwordx2 v[48:49], v[16:17], off
	v_mad_u64_u32 v[16:17], s[2:3], s4, v70, v[16:17]
	v_add_u32_e32 v17, s6, v17
	global_load_dwordx2 v[50:51], v[24:25], off offset:448
	global_load_dwordx2 v[52:53], v[16:17], off
	v_mad_u64_u32 v[16:17], s[2:3], s4, v70, v[16:17]
	v_add_u32_e32 v17, s6, v17
	global_load_dwordx2 v[54:55], v[16:17], off
	global_load_dwordx2 v[56:57], v[24:25], off offset:1408
	global_load_dwordx2 v[58:59], v[24:25], off offset:2368
	;; [unrolled: 1-line block ×3, first 2 shown]
	v_mad_u64_u32 v[16:17], s[2:3], s4, v70, v[16:17]
	s_movk_i32 s2, 0x3000
	v_add_u32_e32 v17, s6, v17
	v_add_co_u32_e64 v20, s[2:3], s2, v20
	global_load_dwordx2 v[24:25], v[16:17], off
	s_nop 0
	v_addc_co_u32_e64 v21, s[2:3], 0, v21, s[2:3]
	v_mad_u64_u32 v[16:17], s[2:3], s4, v70, v[16:17]
	v_add_u32_e32 v17, s6, v17
	global_load_dwordx2 v[62:63], v[20:21], off offset:192
	global_load_dwordx2 v[66:67], v[16:17], off
	global_load_dwordx2 v[68:69], v[20:21], off offset:1152
	v_mad_u64_u32 v[16:17], s[2:3], s4, v70, v[16:17]
	v_mad_u64_u32 v[64:65], s[2:3], s4, v74, 0
	v_add_u32_e32 v17, s6, v17
	global_load_dwordx2 v[70:71], v[16:17], off
	global_load_dwordx2 v[72:73], v[20:21], off offset:2112
	v_mov_b32_e32 v16, v65
	v_mad_u64_u32 v[16:17], s[2:3], s5, v74, v[16:17]
	v_mov_b32_e32 v65, v16
	v_lshl_add_u64 v[2:3], v[64:65], 3, v[2:3]
	global_load_dwordx2 v[2:3], v[2:3], off
	v_add_u32_e32 v20, 0x400, v110
	s_waitcnt vmcnt(31)
	v_mul_f32_e32 v16, v1, v11
	v_mul_f32_e32 v11, v0, v11
	v_fmac_f32_e32 v16, v0, v10
	v_fma_f32 v17, v1, v10, -v11
	s_waitcnt vmcnt(30)
	v_mul_f32_e32 v0, v5, v9
	v_mul_f32_e32 v1, v4, v9
	v_fmac_f32_e32 v0, v4, v8
	v_fma_f32 v1, v5, v8, -v1
	ds_write2_b64 v110, v[16:17], v[0:1] offset1:120
	s_waitcnt vmcnt(21)
	v_mul_f32_e32 v0, v37, v7
	v_mul_f32_e32 v1, v36, v7
	s_waitcnt vmcnt(20)
	v_mul_f32_e32 v4, v23, v13
	v_mul_f32_e32 v5, v22, v13
	v_fmac_f32_e32 v0, v36, v6
	v_fma_f32 v1, v37, v6, -v1
	v_fmac_f32_e32 v4, v22, v12
	v_fma_f32 v5, v23, v12, -v5
	ds_write2_b64 v20, v[0:1], v[4:5] offset0:112 offset1:232
	s_waitcnt vmcnt(19)
	v_mul_f32_e32 v0, v38, v15
	v_fma_f32 v1, v39, v14, -v0
	v_mul_f32_e32 v0, v39, v15
	s_waitcnt vmcnt(18)
	v_mul_f32_e32 v4, v19, v29
	v_mul_f32_e32 v5, v18, v29
	v_fmac_f32_e32 v0, v38, v14
	v_fmac_f32_e32 v4, v18, v28
	v_fma_f32 v5, v19, v28, -v5
	v_add_u32_e32 v6, 0xc00, v110
	ds_write2_b64 v6, v[0:1], v[4:5] offset0:96 offset1:216
	s_waitcnt vmcnt(17)
	v_mul_f32_e32 v0, v41, v31
	v_mul_f32_e32 v1, v40, v31
	s_waitcnt vmcnt(16)
	v_mul_f32_e32 v4, v43, v33
	v_mul_f32_e32 v5, v42, v33
	v_fmac_f32_e32 v0, v40, v30
	v_fma_f32 v1, v41, v30, -v1
	v_fmac_f32_e32 v4, v42, v32
	v_fma_f32 v5, v43, v32, -v5
	v_add_u32_e32 v6, 0x1400, v110
	ds_write2_b64 v6, v[0:1], v[4:5] offset0:80 offset1:200
	s_waitcnt vmcnt(15)
	v_mul_f32_e32 v0, v45, v35
	v_mul_f32_e32 v1, v44, v35
	s_waitcnt vmcnt(12)
	v_mul_f32_e32 v4, v47, v51
	v_mul_f32_e32 v5, v46, v51
	v_fmac_f32_e32 v0, v44, v34
	v_fma_f32 v1, v45, v34, -v1
	;; [unrolled: 12-line block ×5, first 2 shown]
	v_fmac_f32_e32 v4, v70, v72
	v_fma_f32 v5, v71, v72, -v5
	v_add_u32_e32 v6, 0x3400, v110
	ds_write2_b64 v6, v[0:1], v[4:5] offset0:16 offset1:136
	s_waitcnt vmcnt(0)
	v_mul_f32_e32 v0, v3, v27
	v_mul_f32_e32 v1, v2, v27
	v_fmac_f32_e32 v0, v2, v26
	v_fma_f32 v1, v3, v26, -v1
	ds_write_b64 v110, v[0:1] offset:15360
.LBB0_3:
	s_or_b64 exec, exec, s[14:15]
	s_load_dwordx2 s[4:5], s[0:1], 0x20
	s_load_dwordx2 s[2:3], s[0:1], 0x8
	v_accvgpr_write_b32 a0, v76
	v_accvgpr_write_b32 a1, v77
	v_mov_b64_e32 v[0:1], 0
	s_waitcnt lgkmcnt(0)
	s_barrier
	s_waitcnt lgkmcnt(0)
                                        ; implicit-def: $vgpr6
                                        ; implicit-def: $vgpr12
                                        ; implicit-def: $vgpr10
                                        ; implicit-def: $vgpr20
                                        ; implicit-def: $vgpr18
                                        ; implicit-def: $vgpr28
                                        ; implicit-def: $vgpr26
                                        ; implicit-def: $vgpr44
	s_and_saveexec_b64 s[0:1], vcc
	s_cbranch_execz .LBB0_5
; %bb.4:
	v_add_u32_e32 v4, 0x400, v110
	ds_read2_b64 v[24:27], v4 offset0:112 offset1:232
	v_add_u32_e32 v4, 0xc00, v110
	ds_read2_b64 v[16:19], v4 offset0:96 offset1:216
	;; [unrolled: 2-line block ×3, first 2 shown]
	v_add_u32_e32 v4, 0x1c00, v110
	v_add_u32_e32 v12, 0x2400, v110
	;; [unrolled: 1-line block ×4, first 2 shown]
	ds_read2_b64 v[0:3], v110 offset1:120
	ds_read2_b64 v[4:7], v4 offset0:64 offset1:184
	ds_read2_b64 v[12:15], v12 offset0:48 offset1:168
	;; [unrolled: 1-line block ×4, first 2 shown]
	ds_read_b64 v[44:45], v110 offset:15360
.LBB0_5:
	s_or_b64 exec, exec, s[0:1]
	s_waitcnt lgkmcnt(0)
	v_pk_add_f32 v[38:39], v[2:3], v[44:45] neg_lo:[0,1] neg_hi:[0,1]
	s_mov_b32 s18, 0xbf2c7751
	v_pk_add_f32 v[36:37], v[44:45], v[2:3]
	v_pk_add_f32 v[40:41], v[24:25], v[30:31] neg_lo:[0,1] neg_hi:[0,1]
	s_mov_b32 s0, 0x3f3d2fb0
	s_mov_b32 s16, 0xbf7ee86f
	v_pk_mul_f32 v[46:47], v[38:39], s[18:19] op_sel_hi:[1,0]
	v_pk_add_f32 v[34:35], v[30:31], v[24:25]
	s_mov_b32 s6, 0x3dbcf732
	v_pk_fma_f32 v[78:79], v[36:37], s[0:1], v[46:47] op_sel:[0,0,1] op_sel_hi:[1,0,0]
	v_pk_fma_f32 v[76:77], v[36:37], s[0:1], v[46:47] op_sel:[0,0,1] op_sel_hi:[1,0,0] neg_lo:[0,0,1] neg_hi:[0,0,1]
	v_pk_mul_f32 v[48:49], v[40:41], s[16:17] op_sel_hi:[1,0]
	v_mov_b32_e32 v46, v78
	v_mov_b32_e32 v47, v77
	v_pk_fma_f32 v[82:83], v[34:35], s[6:7], v[48:49] op_sel:[0,0,1] op_sel_hi:[1,0,0]
	v_pk_fma_f32 v[80:81], v[34:35], s[6:7], v[48:49] op_sel:[0,0,1] op_sel_hi:[1,0,0] neg_lo:[0,0,1] neg_hi:[0,0,1]
	v_pk_add_f32 v[42:43], v[26:27], v[28:29] neg_lo:[0,1] neg_hi:[0,1]
	s_mov_b32 s14, 0xbf4c4adb
	v_mov_b32_e32 v48, v82
	v_mov_b32_e32 v49, v81
	v_pk_add_f32 v[46:47], v[46:47], v[0:1]
	v_pk_add_f32 v[32:33], v[28:29], v[26:27]
	s_mov_b32 s10, 0xbf1a4643
	v_pk_add_f32 v[46:47], v[48:49], v[46:47]
	v_pk_mul_f32 v[48:49], v[42:43], s[14:15] op_sel_hi:[1,0]
	s_mov_b32 s28, 0xbe3c28d5
	v_pk_fma_f32 v[84:85], v[32:33], s[10:11], v[48:49] op_sel:[0,0,1] op_sel_hi:[1,0,0]
	v_pk_fma_f32 v[86:87], v[32:33], s[10:11], v[48:49] op_sel:[0,0,1] op_sel_hi:[1,0,0] neg_lo:[0,0,1] neg_hi:[0,0,1]
	v_mov_b32_e32 v48, v84
	v_mov_b32_e32 v49, v87
	v_pk_add_f32 v[54:55], v[16:17], v[22:23] neg_lo:[0,1] neg_hi:[0,1]
	v_pk_add_f32 v[48:49], v[48:49], v[46:47]
	s_mov_b32 s24, 0xbf7ba420
	v_pk_add_f32 v[46:47], v[22:23], v[16:17]
	v_pk_mul_f32 v[50:51], v[54:55], s[28:29] op_sel_hi:[1,0]
	s_mov_b32 s50, 0x3f06c442
	v_pk_fma_f32 v[88:89], v[46:47], s[24:25], v[50:51] op_sel:[0,0,1] op_sel_hi:[1,0,0]
	v_pk_fma_f32 v[90:91], v[46:47], s[24:25], v[50:51] op_sel:[0,0,1] op_sel_hi:[1,0,0] neg_lo:[0,0,1] neg_hi:[0,0,1]
	v_mov_b32_e32 v50, v88
	v_mov_b32_e32 v51, v91
	v_pk_add_f32 v[56:57], v[18:19], v[20:21] neg_lo:[0,1] neg_hi:[0,1]
	;; [unrolled: 10-line block ×4, first 2 shown]
	v_pk_add_f32 v[60:61], v[60:61], v[52:53]
	s_mov_b32 s26, 0x3ee437d1
	v_pk_add_f32 v[52:53], v[12:13], v[10:11]
	v_pk_mul_f32 v[62:63], v[70:71], s[30:31] op_sel_hi:[1,0]
	s_mov_b32 s46, 0xbf65296c
	v_pk_fma_f32 v[104:105], v[52:53], s[26:27], v[62:63] op_sel:[0,0,1] op_sel_hi:[1,0,0]
	v_pk_fma_f32 v[106:107], v[52:53], s[26:27], v[62:63] op_sel:[0,0,1] op_sel_hi:[1,0,0] neg_lo:[0,0,1] neg_hi:[0,0,1]
	v_mov_b32_e32 v62, v104
	v_mov_b32_e32 v63, v107
	v_pk_add_f32 v[60:61], v[62:63], v[60:61]
	v_pk_mul_f32 v[62:63], v[38:39], s[46:47] op_sel_hi:[1,0]
	v_pk_mul_f32 v[64:65], v[40:41], s[14:15] op_sel_hi:[1,0]
	v_pk_fma_f32 v[100:101], v[36:37], s[26:27], v[62:63] op_sel:[0,0,1] op_sel_hi:[1,0,0]
	v_pk_fma_f32 v[102:103], v[36:37], s[26:27], v[62:63] op_sel:[0,0,1] op_sel_hi:[1,0,0] neg_lo:[0,0,1] neg_hi:[0,0,1]
	v_mov_b32_e32 v62, v100
	v_mov_b32_e32 v63, v103
	v_pk_fma_f32 v[108:109], v[34:35], s[10:11], v[64:65] op_sel:[0,0,1] op_sel_hi:[1,0,0]
	v_pk_fma_f32 v[112:113], v[34:35], s[10:11], v[64:65] op_sel:[0,0,1] op_sel_hi:[1,0,0] neg_lo:[0,0,1] neg_hi:[0,0,1]
	v_mov_b32_e32 v64, v108
	v_mov_b32_e32 v65, v113
	v_pk_add_f32 v[62:63], v[62:63], v[0:1]
	s_mov_b32 s34, 0x3e3c28d5
	v_pk_add_f32 v[62:63], v[64:65], v[62:63]
	v_pk_mul_f32 v[64:65], v[42:43], s[34:35] op_sel_hi:[1,0]
	s_mov_b32 s36, 0x3f2c7751
	v_pk_fma_f32 v[114:115], v[32:33], s[24:25], v[64:65] op_sel:[0,0,1] op_sel_hi:[1,0,0]
	v_pk_fma_f32 v[116:117], v[32:33], s[24:25], v[64:65] op_sel:[0,0,1] op_sel_hi:[1,0,0] neg_lo:[0,0,1] neg_hi:[0,0,1]
	v_mov_b32_e32 v64, v114
	v_mov_b32_e32 v65, v117
	v_pk_add_f32 v[62:63], v[64:65], v[62:63]
	v_pk_mul_f32 v[64:65], v[54:55], s[42:43] op_sel_hi:[1,0]
	s_mov_b32 s44, 0xbeb8f4ab
	v_pk_fma_f32 v[118:119], v[46:47], s[20:21], v[64:65] op_sel:[0,0,1] op_sel_hi:[1,0,0]
	v_pk_fma_f32 v[120:121], v[46:47], s[20:21], v[64:65] op_sel:[0,0,1] op_sel_hi:[1,0,0] neg_lo:[0,0,1] neg_hi:[0,0,1]
	v_mov_b32_e32 v64, v118
	v_mov_b32_e32 v65, v121
	;; [unrolled: 7-line block ×5, first 2 shown]
	v_pk_add_f32 v[74:75], v[4:5], v[6:7] neg_lo:[0,1] neg_hi:[0,1]
	v_pk_add_f32 v[64:65], v[64:65], v[62:63]
	v_pk_add_f32 v[72:73], v[6:7], v[4:5]
	v_pk_mul_f32 v[62:63], v[74:75], s[40:41] op_sel_hi:[1,0]
	v_pk_mul_f32 v[66:67], v[74:75], s[38:39] op_sel_hi:[1,0]
	v_pk_fma_f32 v[138:139], v[72:73], s[34:35], v[62:63] op_sel:[0,0,1] op_sel_hi:[1,0,0]
	v_pk_fma_f32 v[140:141], v[72:73], s[34:35], v[62:63] op_sel:[0,0,1] op_sel_hi:[1,0,0] neg_lo:[0,0,1] neg_hi:[0,0,1]
	v_pk_fma_f32 v[134:135], v[72:73], s[22:23], v[66:67] op_sel:[0,0,1] op_sel_hi:[1,0,0]
	v_pk_fma_f32 v[136:137], v[72:73], s[22:23], v[66:67] op_sel:[0,0,1] op_sel_hi:[1,0,0] neg_lo:[0,0,1] neg_hi:[0,0,1]
	v_mov_b32_e32 v62, v138
	v_mov_b32_e32 v63, v141
	;; [unrolled: 1-line block ×4, first 2 shown]
	s_mov_b32 s48, 0xbf763a35
	v_pk_add_f32 v[62:63], v[62:63], v[60:61]
	v_pk_add_f32 v[60:61], v[66:67], v[64:65]
	v_pk_mul_f32 v[64:65], v[38:39], s[48:49] op_sel_hi:[1,0]
	v_pk_mul_f32 v[66:67], v[40:41], s[50:51] op_sel_hi:[1,0]
	v_pk_fma_f32 v[142:143], v[36:37], s[20:21], v[64:65] op_sel:[0,0,1] op_sel_hi:[1,0,0]
	v_pk_fma_f32 v[144:145], v[36:37], s[20:21], v[64:65] op_sel:[0,0,1] op_sel_hi:[1,0,0] neg_lo:[0,0,1] neg_hi:[0,0,1]
	v_mov_b32_e32 v64, v142
	v_mov_b32_e32 v65, v145
	v_pk_fma_f32 v[146:147], v[34:35], s[22:23], v[66:67] op_sel:[0,0,1] op_sel_hi:[1,0,0]
	v_pk_fma_f32 v[148:149], v[34:35], s[22:23], v[66:67] op_sel:[0,0,1] op_sel_hi:[1,0,0] neg_lo:[0,0,1] neg_hi:[0,0,1]
	v_pk_add_f32 v[64:65], v[64:65], v[0:1]
	v_mov_b32_e32 v66, v146
	v_mov_b32_e32 v67, v149
	v_pk_add_f32 v[64:65], v[66:67], v[64:65]
	v_pk_mul_f32 v[66:67], v[42:43], s[36:37] op_sel_hi:[1,0]
	s_mov_b32 s50, 0x3f7ee86f
	v_pk_fma_f32 v[150:151], v[32:33], s[0:1], v[66:67] op_sel:[0,0,1] op_sel_hi:[1,0,0]
	v_pk_fma_f32 v[152:153], v[32:33], s[0:1], v[66:67] op_sel:[0,0,1] op_sel_hi:[1,0,0] neg_lo:[0,0,1] neg_hi:[0,0,1]
	v_mov_b32_e32 v66, v150
	v_mov_b32_e32 v67, v153
	v_pk_add_f32 v[64:65], v[66:67], v[64:65]
	v_pk_mul_f32 v[66:67], v[54:55], s[46:47] op_sel_hi:[1,0]
	v_pk_mul_f32 v[68:69], v[40:41], s[28:29] op_sel_hi:[1,0]
	v_pk_fma_f32 v[154:155], v[46:47], s[26:27], v[66:67] op_sel:[0,0,1] op_sel_hi:[1,0,0]
	v_pk_fma_f32 v[156:157], v[46:47], s[26:27], v[66:67] op_sel:[0,0,1] op_sel_hi:[1,0,0] neg_lo:[0,0,1] neg_hi:[0,0,1]
	v_mov_b32_e32 v66, v154
	v_mov_b32_e32 v67, v157
	v_pk_add_f32 v[64:65], v[66:67], v[64:65]
	v_pk_mul_f32 v[66:67], v[56:57], s[28:29] op_sel_hi:[1,0]
	v_pk_fma_f32 v[174:175], v[34:35], s[24:25], v[68:69] op_sel:[0,0,1] op_sel_hi:[1,0,0]
	v_pk_fma_f32 v[158:159], v[48:49], s[24:25], v[66:67] op_sel:[0,0,1] op_sel_hi:[1,0,0]
	v_pk_fma_f32 v[160:161], v[48:49], s[24:25], v[66:67] op_sel:[0,0,1] op_sel_hi:[1,0,0] neg_lo:[0,0,1] neg_hi:[0,0,1]
	v_mov_b32_e32 v66, v158
	v_mov_b32_e32 v67, v161
	v_pk_add_f32 v[64:65], v[66:67], v[64:65]
	v_pk_mul_f32 v[66:67], v[58:59], s[50:51] op_sel_hi:[1,0]
	v_pk_fma_f32 v[176:177], v[34:35], s[24:25], v[68:69] op_sel:[0,0,1] op_sel_hi:[1,0,0] neg_lo:[0,0,1] neg_hi:[0,0,1]
	v_pk_fma_f32 v[162:163], v[50:51], s[6:7], v[66:67] op_sel:[0,0,1] op_sel_hi:[1,0,0]
	v_pk_fma_f32 v[164:165], v[50:51], s[6:7], v[66:67] op_sel:[0,0,1] op_sel_hi:[1,0,0] neg_lo:[0,0,1] neg_hi:[0,0,1]
	v_mov_b32_e32 v66, v162
	v_mov_b32_e32 v67, v165
	v_pk_add_f32 v[64:65], v[66:67], v[64:65]
	v_pk_mul_f32 v[66:67], v[38:39], s[16:17] op_sel_hi:[1,0]
	v_mov_b32_e32 v68, v174
	v_pk_fma_f32 v[170:171], v[36:37], s[6:7], v[66:67] op_sel:[0,0,1] op_sel_hi:[1,0,0]
	v_pk_fma_f32 v[172:173], v[36:37], s[6:7], v[66:67] op_sel:[0,0,1] op_sel_hi:[1,0,0] neg_lo:[0,0,1] neg_hi:[0,0,1]
	v_mov_b32_e32 v66, v170
	v_mov_b32_e32 v67, v173
	;; [unrolled: 1-line block ×3, first 2 shown]
	v_pk_add_f32 v[66:67], v[66:67], v[0:1]
	s_mov_b32 s52, 0x3f4c4adb
	v_pk_add_f32 v[66:67], v[68:69], v[66:67]
	v_pk_mul_f32 v[68:69], v[42:43], s[42:43] op_sel_hi:[1,0]
	v_pk_mul_f32 v[210:211], v[40:41], s[18:19] op_sel_hi:[1,0]
	v_pk_fma_f32 v[178:179], v[32:33], s[20:21], v[68:69] op_sel:[0,0,1] op_sel_hi:[1,0,0]
	v_pk_fma_f32 v[180:181], v[32:33], s[20:21], v[68:69] op_sel:[0,0,1] op_sel_hi:[1,0,0] neg_lo:[0,0,1] neg_hi:[0,0,1]
	v_mov_b32_e32 v68, v178
	v_mov_b32_e32 v69, v181
	v_pk_add_f32 v[66:67], v[68:69], v[66:67]
	v_pk_mul_f32 v[68:69], v[54:55], s[40:41] op_sel_hi:[1,0]
	v_pk_fma_f32 v[212:213], v[34:35], s[0:1], v[210:211] op_sel:[0,0,1] op_sel_hi:[1,0,0]
	v_pk_fma_f32 v[186:187], v[46:47], s[34:35], v[68:69] op_sel:[0,0,1] op_sel_hi:[1,0,0]
	v_pk_fma_f32 v[188:189], v[46:47], s[34:35], v[68:69] op_sel:[0,0,1] op_sel_hi:[1,0,0] neg_lo:[0,0,1] neg_hi:[0,0,1]
	v_mov_b32_e32 v68, v186
	v_mov_b32_e32 v69, v189
	v_pk_add_f32 v[66:67], v[68:69], v[66:67]
	v_pk_mul_f32 v[68:69], v[56:57], s[46:47] op_sel_hi:[1,0]
	v_pk_fma_f32 v[210:211], v[34:35], s[0:1], v[210:211] op_sel:[0,0,1] op_sel_hi:[1,0,0] neg_lo:[0,0,1] neg_hi:[0,0,1]
	v_pk_fma_f32 v[190:191], v[48:49], s[26:27], v[68:69] op_sel:[0,0,1] op_sel_hi:[1,0,0]
	v_pk_fma_f32 v[192:193], v[48:49], s[26:27], v[68:69] op_sel:[0,0,1] op_sel_hi:[1,0,0] neg_lo:[0,0,1] neg_hi:[0,0,1]
	v_mov_b32_e32 v68, v190
	v_mov_b32_e32 v69, v193
	v_pk_add_f32 v[66:67], v[68:69], v[66:67]
	v_pk_mul_f32 v[68:69], v[58:59], s[38:39] op_sel_hi:[1,0]
	v_mov_b32_e32 v214, v212
	v_pk_fma_f32 v[194:195], v[50:51], s[22:23], v[68:69] op_sel:[0,0,1] op_sel_hi:[1,0,0]
	v_pk_fma_f32 v[196:197], v[50:51], s[22:23], v[68:69] op_sel:[0,0,1] op_sel_hi:[1,0,0] neg_lo:[0,0,1] neg_hi:[0,0,1]
	v_mov_b32_e32 v68, v194
	v_mov_b32_e32 v69, v197
	v_pk_add_f32 v[66:67], v[68:69], v[66:67]
	v_pk_mul_f32 v[68:69], v[70:71], s[52:53] op_sel_hi:[1,0]
	v_mov_b32_e32 v215, v211
	v_pk_fma_f32 v[198:199], v[52:53], s[10:11], v[68:69] op_sel:[0,0,1] op_sel_hi:[1,0,0]
	v_pk_fma_f32 v[200:201], v[52:53], s[10:11], v[68:69] op_sel:[0,0,1] op_sel_hi:[1,0,0] neg_lo:[0,0,1] neg_hi:[0,0,1]
	v_mov_b32_e32 v68, v198
	v_mov_b32_e32 v69, v201
	v_pk_add_f32 v[66:67], v[68:69], v[66:67]
	v_pk_mul_f32 v[68:69], v[70:71], s[44:45] op_sel_hi:[1,0]
	v_pk_mul_f32 v[216:217], v[42:43], s[46:47] op_sel_hi:[1,0]
	v_pk_fma_f32 v[166:167], v[52:53], s[34:35], v[68:69] op_sel:[0,0,1] op_sel_hi:[1,0,0]
	v_pk_fma_f32 v[168:169], v[52:53], s[34:35], v[68:69] op_sel:[0,0,1] op_sel_hi:[1,0,0] neg_lo:[0,0,1] neg_hi:[0,0,1]
	v_mov_b32_e32 v68, v166
	v_mov_b32_e32 v69, v169
	v_pk_add_f32 v[64:65], v[68:69], v[64:65]
	v_pk_mul_f32 v[68:69], v[74:75], s[36:37] op_sel_hi:[1,0]
	v_pk_mul_f32 v[220:221], v[54:55], s[16:17] op_sel_hi:[1,0]
	;; [unrolled: 7-line block ×4, first 2 shown]
	v_pk_fma_f32 v[208:209], v[36:37], s[34:35], v[68:69] op_sel:[0,0,1] op_sel_hi:[1,0,0]
	v_pk_fma_f32 v[206:207], v[36:37], s[34:35], v[68:69] op_sel:[0,0,1] op_sel_hi:[1,0,0] neg_lo:[0,0,1] neg_hi:[0,0,1]
	v_mov_b32_e32 v68, v208
	v_mov_b32_e32 v69, v207
	v_pk_add_f32 v[68:69], v[68:69], v[0:1]
	v_pk_mul_f32 v[232:233], v[70:71], s[38:39] op_sel_hi:[1,0]
	v_pk_add_f32 v[68:69], v[214:215], v[68:69]
	v_pk_fma_f32 v[214:215], v[32:33], s[26:27], v[216:217] op_sel:[0,0,1] op_sel_hi:[1,0,0]
	v_pk_fma_f32 v[216:217], v[32:33], s[26:27], v[216:217] op_sel:[0,0,1] op_sel_hi:[1,0,0] neg_lo:[0,0,1] neg_hi:[0,0,1]
	v_mov_b32_e32 v218, v214
	v_mov_b32_e32 v219, v217
	v_pk_add_f32 v[68:69], v[218:219], v[68:69]
	v_pk_fma_f32 v[218:219], v[46:47], s[6:7], v[220:221] op_sel:[0,0,1] op_sel_hi:[1,0,0]
	v_pk_fma_f32 v[220:221], v[46:47], s[6:7], v[220:221] op_sel:[0,0,1] op_sel_hi:[1,0,0] neg_lo:[0,0,1] neg_hi:[0,0,1]
	v_mov_b32_e32 v222, v218
	v_mov_b32_e32 v223, v221
	;; [unrolled: 5-line block ×5, first 2 shown]
	v_pk_mul_f32 v[236:237], v[74:75], s[28:29] op_sel_hi:[1,0]
	v_pk_add_f32 v[68:69], v[234:235], v[68:69]
	v_pk_fma_f32 v[234:235], v[72:73], s[24:25], v[236:237] op_sel:[0,0,1] op_sel_hi:[1,0,0]
	v_pk_fma_f32 v[236:237], v[72:73], s[24:25], v[236:237] op_sel:[0,0,1] op_sel_hi:[1,0,0] neg_lo:[0,0,1] neg_hi:[0,0,1]
	v_mov_b32_e32 v238, v234
	v_mov_b32_e32 v239, v237
	v_pk_add_f32 v[68:69], v[238:239], v[68:69]
	v_accvgpr_read_b32 v239, a1
	v_accvgpr_read_b32 v238, a0
	v_mul_lo_u16_e32 v77, 17, v238
	v_accvgpr_write_b32 a27, v77
	s_barrier
	s_and_saveexec_b64 s[46:47], vcc
	s_cbranch_execz .LBB0_7
; %bb.6:
	v_pk_add_f32 v[2:3], v[2:3], v[0:1]
	v_mov_b32_e32 v207, v209
	v_pk_add_f32 v[2:3], v[24:25], v[2:3]
	v_mov_b32_e32 v211, v213
	;; [unrolled: 2-line block ×7, first 2 shown]
	v_pk_add_f32 v[2:3], v[4:5], v[2:3]
	v_pk_add_f32 v[4:5], v[206:207], v[0:1]
	;; [unrolled: 1-line block ×15, first 2 shown]
	v_mov_b32_e32 v237, v235
	v_accvgpr_read_b32 v6, a27
	v_pk_add_f32 v[2:3], v[44:45], v[2:3]
	v_pk_add_f32 v[4:5], v[236:237], v[4:5]
	v_lshlrev_b32_e32 v111, 3, v6
	v_mov_b32_e32 v77, v79
	v_mov_b32_e32 v103, v101
	ds_write2_b64 v111, v[2:3], v[4:5] offset1:1
	v_mov_b32_e32 v81, v83
	v_pk_add_f32 v[2:3], v[76:77], v[0:1]
	v_pk_add_f32 v[4:5], v[102:103], v[0:1]
	v_mov_b32_e32 v113, v109
	v_pk_add_f32 v[2:3], v[80:81], v[2:3]
	v_mov_b32_e32 v87, v85
	;; [unrolled: 2-line block ×13, first 2 shown]
	v_pk_add_f32 v[2:3], v[140:141], v[2:3]
	v_pk_add_f32 v[4:5], v[136:137], v[4:5]
	v_mov_b32_e32 v173, v171
	v_mov_b32_e32 v145, v143
	ds_write2_b64 v111, v[2:3], v[4:5] offset0:2 offset1:3
	v_pk_add_f32 v[2:3], v[172:173], v[0:1]
	v_mov_b32_e32 v177, v175
	v_pk_add_f32 v[4:5], v[144:145], v[0:1]
	v_mov_b32_e32 v149, v147
	;; [unrolled: 2-line block ×14, first 2 shown]
	v_pk_add_f32 v[2:3], v[204:205], v[2:3]
	v_pk_add_f32 v[4:5], v[184:185], v[4:5]
	ds_write2_b64 v111, v[2:3], v[4:5] offset0:4 offset1:5
	v_pk_mul_f32 v[2:3], v[38:39], s[14:15] op_sel_hi:[1,0]
	v_pk_mul_f32 v[8:9], v[40:41], s[42:43] op_sel_hi:[1,0]
	v_pk_fma_f32 v[4:5], v[36:37], s[10:11], v[2:3] op_sel:[0,0,1] op_sel_hi:[1,0,0] neg_lo:[0,0,1] neg_hi:[0,0,1]
	v_pk_fma_f32 v[2:3], v[36:37], s[10:11], v[2:3] op_sel:[0,0,1] op_sel_hi:[1,0,0]
	v_mov_b32_e32 v6, v4
	v_mov_b32_e32 v7, v3
	v_pk_fma_f32 v[10:11], v[34:35], s[20:21], v[8:9] op_sel:[0,0,1] op_sel_hi:[1,0,0] neg_lo:[0,0,1] neg_hi:[0,0,1]
	v_pk_fma_f32 v[8:9], v[34:35], s[20:21], v[8:9] op_sel:[0,0,1] op_sel_hi:[1,0,0]
	v_pk_add_f32 v[6:7], v[6:7], v[0:1]
	v_mov_b32_e32 v12, v10
	v_mov_b32_e32 v13, v9
	v_pk_add_f32 v[6:7], v[12:13], v[6:7]
	v_pk_mul_f32 v[12:13], v[42:43], s[44:45] op_sel_hi:[1,0]
	v_pk_mul_f32 v[80:81], v[40:41], s[30:31] op_sel_hi:[1,0]
	v_pk_fma_f32 v[14:15], v[32:33], s[34:35], v[12:13] op_sel:[0,0,1] op_sel_hi:[1,0,0] neg_lo:[0,0,1] neg_hi:[0,0,1]
	v_pk_fma_f32 v[12:13], v[32:33], s[34:35], v[12:13] op_sel:[0,0,1] op_sel_hi:[1,0,0]
	v_mov_b32_e32 v16, v14
	v_mov_b32_e32 v17, v13
	v_pk_add_f32 v[6:7], v[16:17], v[6:7]
	v_pk_mul_f32 v[16:17], v[54:55], s[38:39] op_sel_hi:[1,0]
	v_pk_fma_f32 v[98:99], v[34:35], s[26:27], v[80:81] op_sel:[0,0,1] op_sel_hi:[1,0,0] neg_lo:[0,0,1] neg_hi:[0,0,1]
	v_pk_fma_f32 v[18:19], v[46:47], s[22:23], v[16:17] op_sel:[0,0,1] op_sel_hi:[1,0,0] neg_lo:[0,0,1] neg_hi:[0,0,1]
	v_pk_fma_f32 v[16:17], v[46:47], s[22:23], v[16:17] op_sel:[0,0,1] op_sel_hi:[1,0,0]
	v_mov_b32_e32 v20, v18
	v_mov_b32_e32 v21, v17
	v_pk_add_f32 v[6:7], v[20:21], v[6:7]
	v_pk_mul_f32 v[20:21], v[56:57], s[50:51] op_sel_hi:[1,0]
	v_pk_fma_f32 v[80:81], v[34:35], s[26:27], v[80:81] op_sel:[0,0,1] op_sel_hi:[1,0,0]
	v_pk_fma_f32 v[22:23], v[48:49], s[6:7], v[20:21] op_sel:[0,0,1] op_sel_hi:[1,0,0] neg_lo:[0,0,1] neg_hi:[0,0,1]
	v_pk_fma_f32 v[20:21], v[48:49], s[6:7], v[20:21] op_sel:[0,0,1] op_sel_hi:[1,0,0]
	v_mov_b32_e32 v24, v22
	v_mov_b32_e32 v25, v21
	v_pk_add_f32 v[6:7], v[24:25], v[6:7]
	v_pk_mul_f32 v[24:25], v[58:59], s[18:19] op_sel_hi:[1,0]
	v_pk_mul_f32 v[82:83], v[42:43], s[16:17] op_sel_hi:[1,0]
	v_pk_fma_f32 v[26:27], v[50:51], s[0:1], v[24:25] op_sel:[0,0,1] op_sel_hi:[1,0,0] neg_lo:[0,0,1] neg_hi:[0,0,1]
	v_pk_fma_f32 v[24:25], v[50:51], s[0:1], v[24:25] op_sel:[0,0,1] op_sel_hi:[1,0,0]
	v_mov_b32_e32 v28, v26
	v_mov_b32_e32 v29, v25
	v_pk_add_f32 v[6:7], v[28:29], v[6:7]
	v_pk_mul_f32 v[28:29], v[70:71], s[28:29] op_sel_hi:[1,0]
	v_mov_b32_e32 v100, v98
	v_pk_fma_f32 v[30:31], v[52:53], s[24:25], v[28:29] op_sel:[0,0,1] op_sel_hi:[1,0,0] neg_lo:[0,0,1] neg_hi:[0,0,1]
	v_pk_fma_f32 v[28:29], v[52:53], s[24:25], v[28:29] op_sel:[0,0,1] op_sel_hi:[1,0,0]
	v_mov_b32_e32 v44, v30
	v_mov_b32_e32 v45, v29
	v_pk_add_f32 v[6:7], v[44:45], v[6:7]
	v_pk_mul_f32 v[44:45], v[74:75], s[30:31] op_sel_hi:[1,0]
	v_mov_b32_e32 v101, v81
	v_pk_fma_f32 v[76:77], v[72:73], s[26:27], v[44:45] op_sel:[0,0,1] op_sel_hi:[1,0,0] neg_lo:[0,0,1] neg_hi:[0,0,1]
	v_pk_fma_f32 v[44:45], v[72:73], s[26:27], v[44:45] op_sel:[0,0,1] op_sel_hi:[1,0,0]
	v_mov_b32_e32 v78, v76
	v_mov_b32_e32 v79, v45
	v_pk_add_f32 v[6:7], v[78:79], v[6:7]
	v_pk_mul_f32 v[78:79], v[38:39], s[38:39] op_sel_hi:[1,0]
	v_pk_mul_f32 v[84:85], v[54:55], s[52:53] op_sel_hi:[1,0]
	v_pk_fma_f32 v[94:95], v[36:37], s[22:23], v[78:79] op_sel:[0,0,1] op_sel_hi:[1,0,0] neg_lo:[0,0,1] neg_hi:[0,0,1]
	v_pk_fma_f32 v[78:79], v[36:37], s[22:23], v[78:79] op_sel:[0,0,1] op_sel_hi:[1,0,0]
	v_mov_b32_e32 v96, v94
	v_mov_b32_e32 v97, v79
	v_pk_add_f32 v[96:97], v[96:97], v[0:1]
	v_pk_mul_f32 v[86:87], v[56:57], s[44:45] op_sel_hi:[1,0]
	v_pk_add_f32 v[96:97], v[100:101], v[96:97]
	v_pk_fma_f32 v[100:101], v[32:33], s[6:7], v[82:83] op_sel:[0,0,1] op_sel_hi:[1,0,0] neg_lo:[0,0,1] neg_hi:[0,0,1]
	v_pk_fma_f32 v[82:83], v[32:33], s[6:7], v[82:83] op_sel:[0,0,1] op_sel_hi:[1,0,0]
	v_mov_b32_e32 v102, v100
	v_mov_b32_e32 v103, v83
	v_pk_add_f32 v[96:97], v[102:103], v[96:97]
	v_pk_fma_f32 v[102:103], v[46:47], s[10:11], v[84:85] op_sel:[0,0,1] op_sel_hi:[1,0,0] neg_lo:[0,0,1] neg_hi:[0,0,1]
	v_pk_fma_f32 v[84:85], v[46:47], s[10:11], v[84:85] op_sel:[0,0,1] op_sel_hi:[1,0,0]
	v_mov_b32_e32 v104, v102
	v_mov_b32_e32 v105, v85
	v_pk_add_f32 v[96:97], v[104:105], v[96:97]
	v_pk_fma_f32 v[104:105], v[48:49], s[34:35], v[86:87] op_sel:[0,0,1] op_sel_hi:[1,0,0] neg_lo:[0,0,1] neg_hi:[0,0,1]
	v_pk_fma_f32 v[86:87], v[48:49], s[34:35], v[86:87] op_sel:[0,0,1] op_sel_hi:[1,0,0]
	v_pk_mul_f32 v[88:89], v[58:59], s[28:29] op_sel_hi:[1,0]
	v_mov_b32_e32 v106, v104
	v_mov_b32_e32 v107, v87
	v_pk_add_f32 v[96:97], v[106:107], v[96:97]
	v_pk_fma_f32 v[106:107], v[50:51], s[24:25], v[88:89] op_sel:[0,0,1] op_sel_hi:[1,0,0] neg_lo:[0,0,1] neg_hi:[0,0,1]
	v_pk_fma_f32 v[88:89], v[50:51], s[24:25], v[88:89] op_sel:[0,0,1] op_sel_hi:[1,0,0]
	v_pk_mul_f32 v[90:91], v[70:71], s[36:37] op_sel_hi:[1,0]
	v_mov_b32_e32 v108, v106
	v_mov_b32_e32 v109, v89
	v_pk_add_f32 v[96:97], v[108:109], v[96:97]
	v_pk_fma_f32 v[108:109], v[52:53], s[0:1], v[90:91] op_sel:[0,0,1] op_sel_hi:[1,0,0] neg_lo:[0,0,1] neg_hi:[0,0,1]
	v_pk_fma_f32 v[90:91], v[52:53], s[0:1], v[90:91] op_sel:[0,0,1] op_sel_hi:[1,0,0]
	v_pk_mul_f32 v[92:93], v[74:75], s[48:49] op_sel_hi:[1,0]
	v_mov_b32_e32 v112, v108
	v_mov_b32_e32 v113, v91
	v_pk_add_f32 v[96:97], v[112:113], v[96:97]
	v_pk_fma_f32 v[112:113], v[72:73], s[20:21], v[92:93] op_sel:[0,0,1] op_sel_hi:[1,0,0] neg_lo:[0,0,1] neg_hi:[0,0,1]
	v_pk_fma_f32 v[92:93], v[72:73], s[20:21], v[92:93] op_sel:[0,0,1] op_sel_hi:[1,0,0]
	v_mov_b32_e32 v114, v112
	v_mov_b32_e32 v115, v93
	v_pk_add_f32 v[96:97], v[114:115], v[96:97]
	ds_write2_b64 v111, v[6:7], v[96:97] offset0:6 offset1:7
	v_pk_mul_f32 v[6:7], v[38:39], s[28:29] op_sel_hi:[1,0]
	v_pk_mul_f32 v[38:39], v[40:41], s[40:41] op_sel_hi:[1,0]
	;; [unrolled: 1-line block ×8, first 2 shown]
	v_pk_fma_f32 v[74:75], v[36:37], s[24:25], v[6:7] op_sel:[0,0,1] op_sel_hi:[1,0,0] neg_lo:[0,0,1] neg_hi:[0,0,1]
	v_pk_fma_f32 v[6:7], v[36:37], s[24:25], v[6:7] op_sel:[0,0,1] op_sel_hi:[1,0,0]
	v_mov_b32_e32 v36, v74
	v_mov_b32_e32 v37, v7
	v_pk_fma_f32 v[96:97], v[34:35], s[34:35], v[38:39] op_sel:[0,0,1] op_sel_hi:[1,0,0] neg_lo:[0,0,1] neg_hi:[0,0,1]
	v_pk_fma_f32 v[34:35], v[34:35], s[34:35], v[38:39] op_sel:[0,0,1] op_sel_hi:[1,0,0]
	v_pk_add_f32 v[36:37], v[36:37], v[0:1]
	v_mov_b32_e32 v38, v96
	v_mov_b32_e32 v39, v35
	v_pk_add_f32 v[36:37], v[38:39], v[36:37]
	v_pk_fma_f32 v[38:39], v[32:33], s[22:23], v[40:41] op_sel:[0,0,1] op_sel_hi:[1,0,0] neg_lo:[0,0,1] neg_hi:[0,0,1]
	v_pk_fma_f32 v[32:33], v[32:33], s[22:23], v[40:41] op_sel:[0,0,1] op_sel_hi:[1,0,0]
	v_mov_b32_e32 v40, v38
	v_mov_b32_e32 v41, v33
	v_pk_add_f32 v[36:37], v[40:41], v[36:37]
	v_pk_fma_f32 v[40:41], v[46:47], s[0:1], v[42:43] op_sel:[0,0,1] op_sel_hi:[1,0,0] neg_lo:[0,0,1] neg_hi:[0,0,1]
	v_pk_fma_f32 v[42:43], v[46:47], s[0:1], v[42:43] op_sel:[0,0,1] op_sel_hi:[1,0,0]
	;; [unrolled: 5-line block ×3, first 2 shown]
	v_mov_b32_e32 v7, v75
	v_mov_b32_e32 v54, v46
	v_mov_b32_e32 v55, v49
	v_pk_add_f32 v[6:7], v[6:7], v[0:1]
	v_mov_b32_e32 v35, v97
	v_pk_add_f32 v[36:37], v[54:55], v[36:37]
	v_pk_fma_f32 v[54:55], v[50:51], s[26:27], v[56:57] op_sel:[0,0,1] op_sel_hi:[1,0,0] neg_lo:[0,0,1] neg_hi:[0,0,1]
	v_pk_fma_f32 v[50:51], v[50:51], s[26:27], v[56:57] op_sel:[0,0,1] op_sel_hi:[1,0,0]
	v_pk_add_f32 v[6:7], v[34:35], v[6:7]
	v_mov_b32_e32 v33, v39
	v_mov_b32_e32 v56, v54
	v_mov_b32_e32 v57, v51
	v_pk_add_f32 v[6:7], v[32:33], v[6:7]
	v_mov_b32_e32 v43, v41
	v_pk_add_f32 v[36:37], v[56:57], v[36:37]
	v_pk_fma_f32 v[56:57], v[52:53], s[20:21], v[58:59] op_sel:[0,0,1] op_sel_hi:[1,0,0] neg_lo:[0,0,1] neg_hi:[0,0,1]
	v_pk_fma_f32 v[52:53], v[52:53], s[20:21], v[58:59] op_sel:[0,0,1] op_sel_hi:[1,0,0]
	v_pk_add_f32 v[6:7], v[42:43], v[6:7]
	v_mov_b32_e32 v49, v47
	v_mov_b32_e32 v58, v56
	v_mov_b32_e32 v59, v53
	v_pk_add_f32 v[6:7], v[48:49], v[6:7]
	v_mov_b32_e32 v51, v55
	v_pk_add_f32 v[36:37], v[58:59], v[36:37]
	v_pk_fma_f32 v[58:59], v[72:73], s[6:7], v[70:71] op_sel:[0,0,1] op_sel_hi:[1,0,0] neg_lo:[0,0,1] neg_hi:[0,0,1]
	v_pk_fma_f32 v[70:71], v[72:73], s[6:7], v[70:71] op_sel:[0,0,1] op_sel_hi:[1,0,0]
	v_pk_add_f32 v[6:7], v[50:51], v[6:7]
	v_mov_b32_e32 v53, v57
	v_mov_b32_e32 v72, v58
	;; [unrolled: 1-line block ×3, first 2 shown]
	v_pk_add_f32 v[6:7], v[52:53], v[6:7]
	v_mov_b32_e32 v71, v59
	v_pk_add_f32 v[36:37], v[72:73], v[36:37]
	v_pk_add_f32 v[6:7], v[70:71], v[6:7]
	v_mov_b32_e32 v79, v95
	v_mov_b32_e32 v3, v5
	ds_write2_b64 v111, v[36:37], v[6:7] offset0:8 offset1:9
	v_pk_add_f32 v[6:7], v[78:79], v[0:1]
	v_mov_b32_e32 v81, v99
	v_pk_add_f32 v[0:1], v[2:3], v[0:1]
	v_mov_b32_e32 v9, v11
	;; [unrolled: 2-line block ×14, first 2 shown]
	v_pk_add_f32 v[6:7], v[92:93], v[6:7]
	v_pk_add_f32 v[0:1], v[44:45], v[0:1]
	ds_write2_b64 v111, v[6:7], v[0:1] offset0:10 offset1:11
	ds_write2_b64 v111, v[64:65], v[66:67] offset0:12 offset1:13
	;; [unrolled: 1-line block ×3, first 2 shown]
	ds_write_b64 v111, v[68:69] offset:128
.LBB0_7:
	s_or_b64 exec, exec, s[46:47]
	v_accvgpr_read_b32 v83, a1
	s_mov_b64 s[0:1], 0xaa
	v_accvgpr_read_b32 v82, a0
	v_lshl_add_u64 v[0:1], v[82:83], 0, s[0:1]
	s_mov_b64 s[0:1], 0x154
	v_lshl_add_u64 v[2:3], v[82:83], 0, s[0:1]
	s_mov_b32 s0, 0xf0f1
	v_mul_u32_u24_sdwa v3, v0, s0 dst_sel:DWORD dst_unused:UNUSED_PAD src0_sel:WORD_0 src1_sel:DWORD
	v_lshrrev_b32_e32 v44, 20, v3
	v_mul_u32_u24_sdwa v58, v2, s0 dst_sel:DWORD dst_unused:UNUSED_PAD src0_sel:WORD_0 src1_sel:DWORD
	v_mul_lo_u16_e32 v1, 17, v44
	v_lshrrev_b32_e32 v46, 20, v58
	v_sub_u16_e32 v45, v0, v1
	v_mul_lo_u16_e32 v1, 17, v46
	v_mul_lo_u16_e32 v40, 24, v45
	v_mov_b32_e32 v41, 0
	v_sub_u16_e32 v47, v2, v1
	v_lshl_add_u64 v[8:9], s[2:3], 0, v[40:41]
	v_mul_lo_u16_e32 v40, 24, v47
	s_load_dwordx4 s[4:7], s[4:5], 0x0
	s_waitcnt lgkmcnt(0)
	s_barrier
	global_load_dwordx4 v[4:7], v[8:9], off
	global_load_dwordx2 v[74:75], v[8:9], off offset:16
	v_lshl_add_u64 v[8:9], s[2:3], 0, v[40:41]
	s_movk_i32 s1, 0xf1
	global_load_dwordx4 v[24:27], v[8:9], off
	global_load_dwordx2 v[78:79], v[8:9], off offset:16
	v_mul_lo_u16_sdwa v1, v82, s1 dst_sel:DWORD dst_unused:UNUSED_PAD src0_sel:BYTE_0 src1_sel:DWORD
	v_lshrrev_b16_e32 v16, 12, v1
	v_mul_lo_u16_e32 v1, 17, v16
	v_sub_u16_e32 v1, v82, v1
	v_and_b32_e32 v40, 0xff, v1
	v_mad_u64_u32 v[12:13], s[10:11], v40, 24, s[2:3]
	global_load_dwordx4 v[8:11], v[12:13], off
	global_load_dwordx2 v[160:161], v[12:13], off offset:16
	v_mov_b32_e32 v1, 3
	s_mov_b64 s[10:11], 0x1fe
	v_lshlrev_b32_sdwa v140, v1, v82 dst_sel:DWORD dst_unused:UNUSED_PAD src0_sel:DWORD src1_sel:WORD_0
	v_lshl_add_u64 v[42:43], v[82:83], 0, s[10:11]
	v_add_u32_e32 v59, 0x800, v140
	v_add_u32_e32 v70, 0x1400, v140
	;; [unrolled: 1-line block ×4, first 2 shown]
	ds_read2_b64 v[12:15], v140 offset1:170
	v_add_u32_e32 v1, 0x1e00, v140
	v_mul_u32_u24_e32 v43, 0x44, v16
	ds_read2_b64 v[16:19], v59 offset0:84 offset1:254
	ds_read2_b64 v[20:23], v70 offset0:40 offset1:210
	;; [unrolled: 1-line block ×5, first 2 shown]
	s_movk_i32 s1, 0x44
	v_add_lshl_u32 v76, v43, v40, 3
	v_mad_legacy_u16 v40, v44, s1, v45
	v_lshlrev_b32_e32 v73, 3, v40
	v_mad_legacy_u16 v43, v46, s1, v47
	s_waitcnt lgkmcnt(0)
	s_barrier
	v_lshlrev_b32_e32 v43, 3, v43
	v_accvgpr_write_b32 a1, v43
	v_accvgpr_write_b32 a3, v73
	v_accvgpr_write_b32 a26, v76
	v_add_u32_e32 v108, 0xc00, v140
	v_add_u32_e32 v109, 0x1800, v140
	;; [unrolled: 1-line block ×4, first 2 shown]
	s_waitcnt vmcnt(5)
	v_mov_b32_e32 v40, v7
	v_pk_mul_f32 v[44:45], v[20:21], v[4:5] op_sel_hi:[1,0]
	s_waitcnt vmcnt(4)
	v_pk_mul_f32 v[46:47], v[32:33], v[74:75] op_sel_hi:[1,0]
	s_waitcnt vmcnt(3)
	v_mov_b32_e32 v48, v27
	v_pk_mul_f32 v[50:51], v[22:23], v[24:25] op_sel_hi:[1,0]
	s_waitcnt vmcnt(2)
	v_pk_mul_f32 v[52:53], v[34:35], v[78:79] op_sel_hi:[1,0]
	v_pk_mul_f32 v[54:55], v[38:39], v[40:41] op_sel_hi:[1,0]
	v_pk_fma_f32 v[56:57], v[20:21], v[4:5], v[44:45] op_sel:[0,1,1] op_sel_hi:[1,1,0]
	v_pk_fma_f32 v[20:21], v[20:21], v[4:5], v[44:45] op_sel:[0,1,1] op_sel_hi:[1,1,0] neg_lo:[1,0,0] neg_hi:[1,0,0]
	v_pk_fma_f32 v[44:45], v[32:33], v[74:75], v[46:47] op_sel:[0,1,1] op_sel_hi:[1,1,0]
	v_pk_fma_f32 v[32:33], v[32:33], v[74:75], v[46:47] op_sel:[0,1,1] op_sel_hi:[1,1,0] neg_lo:[1,0,0] neg_hi:[1,0,0]
	v_pk_mul_f32 v[46:47], v[28:29], v[48:49] op_sel_hi:[1,0]
	v_pk_fma_f32 v[48:49], v[22:23], v[24:25], v[50:51] op_sel:[0,1,1] op_sel_hi:[1,1,0]
	v_pk_fma_f32 v[22:23], v[22:23], v[24:25], v[50:51] op_sel:[0,1,1] op_sel_hi:[1,1,0] neg_lo:[1,0,0] neg_hi:[1,0,0]
	v_pk_fma_f32 v[50:51], v[34:35], v[78:79], v[52:53] op_sel:[0,1,1] op_sel_hi:[1,1,0]
	v_pk_fma_f32 v[34:35], v[34:35], v[78:79], v[52:53] op_sel:[0,1,1] op_sel_hi:[1,1,0] neg_lo:[1,0,0] neg_hi:[1,0,0]
	v_pk_fma_f32 v[52:53], v[38:39], v[6:7], v[54:55] op_sel:[0,0,1] op_sel_hi:[1,1,0] neg_lo:[0,0,1] neg_hi:[0,0,1]
	v_pk_fma_f32 v[38:39], v[38:39], v[6:7], v[54:55] op_sel:[0,0,1] op_sel_hi:[1,0,0]
	v_mov_b32_e32 v57, v21
	v_mov_b32_e32 v45, v33
	v_pk_fma_f32 v[20:21], v[28:29], v[26:27], v[46:47] op_sel:[0,0,1] op_sel_hi:[1,1,0] neg_lo:[0,0,1] neg_hi:[0,0,1]
	v_pk_fma_f32 v[28:29], v[28:29], v[26:27], v[46:47] op_sel:[0,0,1] op_sel_hi:[1,0,0]
	v_mov_b32_e32 v53, v39
	v_mov_b32_e32 v49, v23
	;; [unrolled: 1-line block ×3, first 2 shown]
	v_pk_add_f32 v[22:23], v[56:57], v[44:45] neg_lo:[0,1] neg_hi:[0,1]
	v_mov_b32_e32 v21, v29
	v_pk_add_f32 v[32:33], v[14:15], v[52:53] neg_lo:[0,1] neg_hi:[0,1]
	v_pk_add_f32 v[28:29], v[48:49], v[50:51] neg_lo:[0,1] neg_hi:[0,1]
	;; [unrolled: 1-line block ×4, first 2 shown]
	v_pk_add_f32 v[38:39], v[32:33], v[22:23]
	v_pk_add_f32 v[44:45], v[20:21], v[28:29] neg_lo:[0,1] neg_hi:[0,1]
	v_pk_add_f32 v[46:47], v[20:21], v[28:29]
	v_mov_b32_e32 v35, v39
	s_waitcnt vmcnt(1)
	v_pk_mul_f32 v[38:39], v[18:19], v[8:9] op_sel:[0,1]
	v_mov_b32_e32 v45, v47
	v_pk_fma_f32 v[46:47], v[18:19], v[8:9], v[38:39] op_sel:[0,0,1] op_sel_hi:[1,1,0] neg_lo:[0,0,1] neg_hi:[0,0,1]
	v_pk_fma_f32 v[18:19], v[18:19], v[8:9], v[38:39] op_sel:[0,0,1] op_sel_hi:[1,0,0]
	v_pk_fma_f32 v[14:15], v[14:15], 2.0, v[32:33] op_sel_hi:[1,0,1] neg_lo:[0,0,1] neg_hi:[0,0,1]
	v_mov_b32_e32 v18, v11
	v_mov_b32_e32 v47, v19
	v_pk_mul_f32 v[18:19], v[36:37], v[18:19] op_sel_hi:[1,0]
	v_lshrrev_b32_e32 v54, 22, v58
	v_pk_fma_f32 v[38:39], v[36:37], v[10:11], v[18:19] op_sel:[0,0,1] op_sel_hi:[1,1,0] neg_lo:[0,0,1] neg_hi:[0,0,1]
	v_pk_fma_f32 v[18:19], v[36:37], v[10:11], v[18:19] op_sel:[0,0,1] op_sel_hi:[1,0,0]
	v_accvgpr_write_b32 a8, v74
	v_mov_b32_e32 v39, v19
	s_waitcnt vmcnt(0)
	v_pk_mul_f32 v[18:19], v[30:31], v[160:161] op_sel:[0,1]
	v_accvgpr_write_b32 a9, v75
	v_pk_fma_f32 v[36:37], v[30:31], v[160:161], v[18:19] op_sel:[0,0,1] op_sel_hi:[1,1,0] neg_lo:[0,0,1] neg_hi:[0,0,1]
	v_pk_fma_f32 v[18:19], v[30:31], v[160:161], v[18:19] op_sel:[0,0,1] op_sel_hi:[1,0,0]
	v_accvgpr_write_b32 a28, v78
	v_mov_b32_e32 v37, v19
	v_pk_add_f32 v[18:19], v[12:13], v[38:39] neg_lo:[0,1] neg_hi:[0,1]
	v_pk_add_f32 v[30:31], v[46:47], v[36:37] neg_lo:[0,1] neg_hi:[0,1]
	v_pk_fma_f32 v[12:13], v[12:13], 2.0, v[18:19] op_sel_hi:[1,0,1] neg_lo:[0,0,1] neg_hi:[0,0,1]
	v_pk_fma_f32 v[36:37], v[46:47], 2.0, v[30:31] op_sel_hi:[1,0,1] neg_lo:[0,0,1] neg_hi:[0,0,1]
	v_pk_add_f32 v[38:39], v[18:19], v[30:31] op_sel:[0,1] op_sel_hi:[1,0] neg_lo:[0,1] neg_hi:[0,1]
	v_pk_add_f32 v[30:31], v[18:19], v[30:31] op_sel:[0,1] op_sel_hi:[1,0]
	v_pk_add_f32 v[36:37], v[12:13], v[36:37] neg_lo:[0,1] neg_hi:[0,1]
	v_mov_b32_e32 v39, v31
	v_pk_fma_f32 v[12:13], v[12:13], 2.0, v[36:37] op_sel_hi:[1,0,1] neg_lo:[0,0,1] neg_hi:[0,0,1]
	v_pk_fma_f32 v[18:19], v[18:19], 2.0, v[38:39] op_sel_hi:[1,0,1] neg_lo:[0,0,1] neg_hi:[0,0,1]
	ds_write2_b64 v76, v[12:13], v[18:19] offset1:17
	v_pk_fma_f32 v[18:19], v[56:57], 2.0, v[22:23] op_sel_hi:[1,0,1] neg_lo:[0,0,1] neg_hi:[0,0,1]
	v_pk_fma_f32 v[12:13], v[32:33], 2.0, v[34:35] op_sel_hi:[1,0,1] neg_lo:[0,0,1] neg_hi:[0,0,1]
	v_pk_add_f32 v[18:19], v[14:15], v[18:19] op_sel:[0,1] op_sel_hi:[1,0] neg_lo:[0,1] neg_hi:[0,1]
	ds_write2_b64 v76, v[36:37], v[38:39] offset0:34 offset1:51
	v_pk_fma_f32 v[14:15], v[14:15], 2.0, v[18:19] op_sel_hi:[1,0,1] neg_lo:[0,0,1] neg_hi:[0,0,1]
	ds_write2_b64 v73, v[14:15], v[12:13] offset1:17
	v_pk_fma_f32 v[14:15], v[16:17], 2.0, v[20:21] op_sel_hi:[1,0,1] neg_lo:[0,0,1] neg_hi:[0,0,1]
	v_pk_fma_f32 v[16:17], v[48:49], 2.0, v[28:29] op_sel_hi:[1,0,1] neg_lo:[0,0,1] neg_hi:[0,0,1]
	;; [unrolled: 1-line block ×3, first 2 shown]
	v_pk_add_f32 v[16:17], v[14:15], v[16:17] op_sel:[0,1] op_sel_hi:[1,0] neg_lo:[0,1] neg_hi:[0,1]
	v_lshrrev_b32_e32 v48, 22, v3
	v_pk_fma_f32 v[14:15], v[14:15], 2.0, v[16:17] op_sel_hi:[1,0,1] neg_lo:[0,0,1] neg_hi:[0,0,1]
	ds_write2_b64 v73, v[18:19], v[34:35] offset0:34 offset1:51
	ds_write2_b64 v43, v[14:15], v[12:13] offset1:17
	v_mul_lo_u16_e32 v3, 0x44, v48
	v_mul_u32_u24_sdwa v14, v42, s0 dst_sel:DWORD dst_unused:UNUSED_PAD src0_sel:WORD_0 src1_sel:DWORD
	v_sub_u16_e32 v49, v0, v3
	v_mul_lo_u16_e32 v3, 0x44, v54
	v_lshrrev_b32_e32 v80, 22, v14
	v_lshlrev_b16_e32 v40, 4, v49
	v_sub_u16_e32 v55, v2, v3
	v_mul_lo_u16_e32 v14, 0x44, v80
	v_lshl_add_u64 v[12:13], s[2:3], 0, v[40:41]
	v_lshlrev_b16_e32 v40, 4, v55
	v_sub_u16_e32 v81, v42, v14
	v_lshl_add_u64 v[2:3], s[2:3], 0, v[40:41]
	v_lshlrev_b16_e32 v40, 4, v81
	v_lshl_add_u64 v[14:15], s[2:3], 0, v[40:41]
	ds_write2_b64 v43, v[16:17], v[44:45] offset0:34 offset1:51
	s_waitcnt lgkmcnt(0)
	s_barrier
	global_load_dwordx4 v[40:43], v[14:15], off offset:408
	global_load_dwordx4 v[36:39], v[2:3], off offset:408
	;; [unrolled: 1-line block ×3, first 2 shown]
	s_movk_i32 s0, 0x79
	v_mul_lo_u16_sdwa v2, v82, s0 dst_sel:DWORD dst_unused:UNUSED_PAD src0_sel:BYTE_0 src1_sel:DWORD
	v_lshrrev_b16_e32 v56, 13, v2
	v_mul_lo_u16_e32 v2, 0x44, v56
	v_sub_u16_e32 v2, v82, v2
	v_and_b32_e32 v57, 0xff, v2
	v_lshlrev_b32_e32 v2, 4, v57
	global_load_dwordx4 v[28:31], v2, s[2:3] offset:408
	ds_read2_b64 v[12:15], v1 offset0:60 offset1:230
	ds_read2_b64 v[16:19], v71 offset0:36 offset1:206
	ds_read2_b64 v[20:23], v59 offset0:84 offset1:254
	s_mov_b32 s0, 0x3f5db3d7
	v_accvgpr_write_b32 a29, v79
	s_waitcnt vmcnt(3) lgkmcnt(2)
	v_pk_mul_f32 v[2:3], v[14:15], v[40:41] op_sel:[0,1]
	v_mov_b32_e32 v44, v43
	v_pk_fma_f32 v[46:47], v[14:15], v[40:41], v[2:3] op_sel:[1,0,0] op_sel_hi:[0,1,1]
	v_pk_fma_f32 v[2:3], v[14:15], v[40:41], v[2:3] op_sel:[1,0,0] op_sel_hi:[0,0,1] neg_lo:[0,0,1] neg_hi:[0,0,1]
	s_waitcnt lgkmcnt(1)
	v_pk_mul_f32 v[14:15], v[18:19], v[44:45] op_sel_hi:[1,0]
	v_mov_b32_e32 v50, v3
	v_pk_fma_f32 v[44:45], v[18:19], v[42:43], v[14:15] op_sel:[1,0,0] op_sel_hi:[0,1,1]
	v_pk_fma_f32 v[14:15], v[18:19], v[42:43], v[14:15] op_sel:[1,0,0] op_sel_hi:[0,0,1] neg_lo:[0,0,1] neg_hi:[0,0,1]
	v_mov_b32_e32 v51, v46
	v_mov_b32_e32 v52, v15
	;; [unrolled: 1-line block ×5, first 2 shown]
	v_pk_add_f32 v[2:3], v[50:51], v[52:53]
	v_pk_add_f32 v[14:15], v[46:47], v[44:45] neg_lo:[0,1] neg_hi:[0,1]
	s_waitcnt lgkmcnt(0)
	v_pk_fma_f32 v[2:3], v[2:3], 0.5, v[22:23] op_sel_hi:[1,0,1] neg_lo:[1,0,0] neg_hi:[1,0,0]
	s_nop 0
	v_pk_fma_f32 v[44:45], v[14:15], s[0:1], v[2:3] op_sel_hi:[1,0,1]
	v_pk_fma_f32 v[2:3], v[14:15], s[0:1], v[2:3] op_sel_hi:[1,0,1] neg_lo:[1,0,0] neg_hi:[1,0,0]
	s_movk_i32 s1, 0xcc
	v_mul_u32_u24_e32 v14, 0xcc, v56
	v_add_lshl_u32 v85, v14, v57, 3
	v_mad_legacy_u16 v14, v48, s1, v49
	v_lshlrev_b32_e32 v84, 3, v14
	v_mad_legacy_u16 v14, v54, s1, v55
	v_lshlrev_b32_e32 v83, 3, v14
	s_waitcnt vmcnt(2)
	v_pk_mul_f32 v[14:15], v[12:13], v[36:37] op_sel:[0,1]
	v_accvgpr_write_b32 a32, v85
	v_pk_fma_f32 v[54:55], v[12:13], v[36:37], v[14:15] op_sel:[0,0,1] op_sel_hi:[1,1,0] neg_lo:[0,0,1] neg_hi:[0,0,1]
	v_pk_fma_f32 v[12:13], v[12:13], v[36:37], v[14:15] op_sel:[0,0,1] op_sel_hi:[1,0,0]
	v_accvgpr_write_b32 a31, v84
	v_mov_b32_e32 v12, v39
	v_mov_b32_e32 v55, v13
	v_pk_mul_f32 v[12:13], v[16:17], v[12:13] op_sel_hi:[1,0]
	v_accvgpr_write_b32 a30, v83
	v_pk_fma_f32 v[56:57], v[16:17], v[38:39], v[12:13] op_sel:[0,0,1] op_sel_hi:[1,1,0] neg_lo:[0,0,1] neg_hi:[0,0,1]
	v_pk_fma_f32 v[12:13], v[16:17], v[38:39], v[12:13] op_sel:[0,0,1] op_sel_hi:[1,0,0]
	s_nop 0
	v_mov_b32_e32 v57, v13
	v_pk_add_f32 v[12:13], v[54:55], v[56:57]
	s_nop 0
	v_pk_fma_f32 v[16:17], v[12:13], 0.5, v[20:21] op_sel_hi:[1,0,1] neg_lo:[1,0,0] neg_hi:[1,0,0]
	v_pk_add_f32 v[12:13], v[54:55], v[56:57] neg_lo:[0,1] neg_hi:[0,1]
	s_nop 0
	v_pk_mul_f32 v[18:19], v[12:13], s[0:1] op_sel_hi:[1,0]
	ds_read2_b64 v[12:15], v70 offset0:40 offset1:210
	v_pk_add_f32 v[58:59], v[16:17], v[18:19] op_sel:[0,1] op_sel_hi:[1,0] neg_lo:[0,1] neg_hi:[0,1]
	v_pk_add_f32 v[70:71], v[16:17], v[18:19] op_sel:[0,1] op_sel_hi:[1,0]
	ds_read2_b64 v[16:19], v140 offset1:170
	ds_read2_b64 v[46:49], v72 offset0:80 offset1:250
	s_waitcnt vmcnt(1) lgkmcnt(0)
	v_pk_mul_f32 v[72:73], v[14:15], v[32:33] op_sel:[0,1]
	s_barrier
	v_pk_fma_f32 v[74:75], v[14:15], v[32:33], v[72:73] op_sel:[0,0,1] op_sel_hi:[1,1,0] neg_lo:[0,0,1] neg_hi:[0,0,1]
	v_pk_fma_f32 v[14:15], v[14:15], v[32:33], v[72:73] op_sel:[0,0,1] op_sel_hi:[1,0,0]
	s_nop 0
	v_mov_b32_e32 v14, v35
	v_mov_b32_e32 v75, v15
	v_pk_mul_f32 v[14:15], v[48:49], v[14:15] op_sel_hi:[1,0]
	s_nop 0
	v_pk_fma_f32 v[72:73], v[48:49], v[34:35], v[14:15] op_sel:[0,0,1] op_sel_hi:[1,1,0] neg_lo:[0,0,1] neg_hi:[0,0,1]
	v_pk_fma_f32 v[14:15], v[48:49], v[34:35], v[14:15] op_sel:[0,0,1] op_sel_hi:[1,0,0]
	s_nop 0
	v_mov_b32_e32 v73, v15
	v_pk_add_f32 v[14:15], v[74:75], v[72:73]
	v_pk_add_f32 v[48:49], v[74:75], v[72:73] neg_lo:[0,1] neg_hi:[0,1]
	v_pk_fma_f32 v[14:15], v[14:15], 0.5, v[18:19] op_sel_hi:[1,0,1] neg_lo:[1,0,0] neg_hi:[1,0,0]
	v_pk_mul_f32 v[48:49], v[48:49], s[0:1] op_sel_hi:[1,0]
	s_nop 0
	v_pk_add_f32 v[76:77], v[14:15], v[48:49] op_sel:[0,1] op_sel_hi:[1,0] neg_lo:[0,1] neg_hi:[0,1]
	v_pk_add_f32 v[14:15], v[14:15], v[48:49] op_sel:[0,1] op_sel_hi:[1,0]
	s_waitcnt vmcnt(0)
	v_pk_mul_f32 v[48:49], v[12:13], v[28:29] op_sel:[0,1]
	s_nop 0
	v_pk_fma_f32 v[78:79], v[12:13], v[28:29], v[48:49] op_sel:[0,0,1] op_sel_hi:[1,1,0] neg_lo:[0,0,1] neg_hi:[0,0,1]
	v_pk_fma_f32 v[12:13], v[12:13], v[28:29], v[48:49] op_sel:[0,0,1] op_sel_hi:[1,0,0]
	s_nop 0
	v_mov_b32_e32 v12, v31
	v_mov_b32_e32 v79, v13
	v_pk_mul_f32 v[12:13], v[46:47], v[12:13] op_sel_hi:[1,0]
	s_nop 0
	v_pk_fma_f32 v[48:49], v[46:47], v[30:31], v[12:13] op_sel:[0,0,1] op_sel_hi:[1,1,0] neg_lo:[0,0,1] neg_hi:[0,0,1]
	v_pk_fma_f32 v[12:13], v[46:47], v[30:31], v[12:13] op_sel:[0,0,1] op_sel_hi:[1,0,0]
	s_nop 0
	v_mov_b32_e32 v49, v13
	v_pk_add_f32 v[46:47], v[78:79], v[48:49]
	v_pk_add_f32 v[12:13], v[16:17], v[78:79]
	v_pk_fma_f32 v[16:17], v[46:47], 0.5, v[16:17] op_sel_hi:[1,0,1] neg_lo:[1,0,0] neg_hi:[1,0,0]
	v_pk_add_f32 v[46:47], v[78:79], v[48:49] neg_lo:[0,1] neg_hi:[0,1]
	v_pk_add_f32 v[12:13], v[12:13], v[48:49]
	v_pk_mul_f32 v[46:47], v[46:47], s[0:1] op_sel_hi:[1,0]
	s_nop 0
	v_pk_add_f32 v[48:49], v[16:17], v[46:47] op_sel:[0,1] op_sel_hi:[1,0]
	v_pk_add_f32 v[16:17], v[16:17], v[46:47] op_sel:[0,1] op_sel_hi:[1,0] neg_lo:[0,1] neg_hi:[0,1]
	v_mov_b32_e32 v46, v48
	v_mov_b32_e32 v47, v17
	ds_write2_b64 v85, v[12:13], v[46:47] offset1:68
	v_mov_b32_e32 v17, v49
	v_pk_add_f32 v[12:13], v[18:19], v[74:75]
	ds_write_b64 v85, v[16:17] offset:1088
	v_pk_add_f32 v[12:13], v[12:13], v[72:73]
	v_mov_b32_e32 v16, v14
	v_mov_b32_e32 v17, v77
	ds_write2_b64 v84, v[12:13], v[16:17] offset1:68
	v_pk_add_f32 v[12:13], v[20:21], v[54:55]
	v_mov_b32_e32 v77, v15
	v_pk_add_f32 v[12:13], v[12:13], v[56:57]
	v_mov_b32_e32 v14, v70
	v_mov_b32_e32 v15, v59
	ds_write_b64 v84, v[76:77] offset:1088
	ds_write2_b64 v83, v[12:13], v[14:15] offset1:68
	v_mad_legacy_u16 v12, v80, s1, v81
	v_lshlrev_b32_e32 v141, 3, v12
	v_pk_add_f32 v[12:13], v[22:23], v[50:51]
	v_mov_b32_e32 v59, v71
	v_pk_add_f32 v[12:13], v[12:13], v[52:53]
	v_mov_b32_e32 v14, v44
	v_mov_b32_e32 v15, v3
	ds_write_b64 v83, v[58:59] offset:1088
	ds_write2_b64 v141, v[12:13], v[14:15] offset1:68
	v_mov_b32_e32 v12, v2
	v_mov_b32_e32 v13, v45
	ds_write_b64 v141, v[12:13] offset:1088
	s_waitcnt lgkmcnt(0)
	s_barrier
	ds_read2_b64 v[92:95], v140 offset1:204
	ds_read2_b64 v[72:75], v108 offset0:24 offset1:228
	ds_read2_b64 v[88:91], v109 offset0:48 offset1:252
	;; [unrolled: 1-line block ×4, first 2 shown]
	v_cmp_gt_u16_e64 s[0:1], 34, v82
                                        ; implicit-def: $vgpr12
                                        ; implicit-def: $vgpr80
                                        ; implicit-def: $vgpr14
                                        ; implicit-def: $vgpr16
	s_and_saveexec_b64 s[10:11], s[0:1]
	s_cbranch_execz .LBB0_9
; %bb.8:
	v_add_u32_e32 v2, 0x400, v140
	ds_read2_b64 v[44:47], v2 offset0:42 offset1:246
	v_add_u32_e32 v2, 0x1200, v140
	ds_read2_b64 v[64:67], v2 offset0:2 offset1:206
	ds_read2_b64 v[60:63], v1 offset0:26 offset1:230
	v_add_u32_e32 v1, 0x2a00, v140
	ds_read2_b64 v[68:71], v1 offset0:50 offset1:254
	v_add_u32_e32 v1, 0x3800, v140
	ds_read2_b64 v[80:83], v1 offset0:10 offset1:214
	s_waitcnt lgkmcnt(4)
	v_mov_b32_e32 v3, v45
	v_mov_b32_e32 v2, v46
	;; [unrolled: 1-line block ×3, first 2 shown]
	s_waitcnt lgkmcnt(1)
	v_mov_b32_e32 v12, v71
	s_waitcnt lgkmcnt(0)
	v_mov_b32_e32 v14, v81
	v_mov_b32_e32 v16, v83
.LBB0_9:
	s_or_b64 exec, exec, s[10:11]
	v_accvgpr_read_b32 v18, a0
	v_subrev_u32_e32 v1, 34, v18
	v_cndmask_b32_e64 v0, v1, v0, s[0:1]
	v_mul_hi_i32_i24_e32 v1, 0x48, v0
	v_mul_i32_i24_e32 v0, 0x48, v0
	v_lshl_add_u64 v[0:1], s[2:3], 0, v[0:1]
	global_load_dwordx4 v[116:119], v[0:1], off offset:1496
	global_load_dwordx4 v[128:131], v[0:1], off offset:1512
	;; [unrolled: 1-line block ×4, first 2 shown]
	global_load_dwordx2 v[132:133], v[0:1], off offset:1560
	s_movk_i32 s10, 0x48
	v_mov_b64_e32 v[0:1], s[2:3]
	v_mad_u64_u32 v[18:19], s[2:3], v18, s10, v[0:1]
	global_load_dwordx2 v[134:135], v[18:19], off offset:1560
	v_mov_b32_e32 v0, v44
	v_mov_b32_e32 v20, v45
	global_load_dwordx4 v[44:47], v[18:19], off offset:1544
	global_load_dwordx4 v[48:51], v[18:19], off offset:1528
	;; [unrolled: 1-line block ×4, first 2 shown]
	v_mov_b32_e32 v22, v65
	v_mov_b32_e32 v96, v67
	;; [unrolled: 1-line block ×6, first 2 shown]
	s_mov_b32 s14, 0x3f737871
	s_mov_b32 s2, 0x3f167918
	;; [unrolled: 1-line block ×7, first 2 shown]
	s_waitcnt vmcnt(9)
	v_pk_mul_f32 v[18:19], v[20:21], v[116:117] op_sel_hi:[0,1]
	v_pk_mul_f32 v[20:21], v[22:23], v[118:119] op_sel_hi:[0,1]
	s_waitcnt vmcnt(8)
	v_pk_mul_f32 v[22:23], v[96:97], v[128:129] op_sel_hi:[0,1]
	v_pk_mul_f32 v[96:97], v[98:99], v[130:131] op_sel_hi:[0,1]
	s_waitcnt vmcnt(7)
	v_pk_mul_f32 v[98:99], v[100:101], v[124:125] op_sel_hi:[0,1]
	s_waitcnt vmcnt(6)
	v_pk_mul_f32 v[104:105], v[14:15], v[122:123] op_sel_hi:[0,1]
	v_pk_mul_f32 v[100:101], v[102:103], v[126:127] op_sel_hi:[0,1]
	s_waitcnt vmcnt(5)
	v_pk_mul_f32 v[106:107], v[16:17], v[132:133] op_sel_hi:[0,1]
	v_pk_fma_f32 v[14:15], v[64:65], v[118:119], v[20:21] op_sel:[0,0,1] op_sel_hi:[1,1,0] neg_lo:[0,0,1] neg_hi:[0,0,1]
	v_pk_fma_f32 v[64:65], v[64:65], v[118:119], v[20:21] op_sel:[0,0,1] op_sel_hi:[0,1,0]
	v_pk_fma_f32 v[16:17], v[62:63], v[124:125], v[98:99] op_sel:[0,0,1] op_sel_hi:[1,1,0] neg_lo:[0,0,1] neg_hi:[0,0,1]
	v_pk_fma_f32 v[98:99], v[62:63], v[124:125], v[98:99] op_sel:[0,0,1] op_sel_hi:[0,1,0]
	;; [unrolled: 2-line block ×3, first 2 shown]
	v_pk_mul_f32 v[102:103], v[12:13], v[120:121] op_sel_hi:[0,1]
	v_pk_fma_f32 v[12:13], v[2:3], v[116:117], v[18:19] op_sel:[0,0,1] op_sel_hi:[1,1,0] neg_lo:[0,0,1] neg_hi:[0,0,1]
	v_pk_fma_f32 v[114:115], v[2:3], v[116:117], v[18:19] op_sel:[0,0,1] op_sel_hi:[0,1,0]
	v_pk_fma_f32 v[2:3], v[66:67], v[128:129], v[22:23] op_sel:[0,0,1] op_sel_hi:[1,1,0] neg_lo:[0,0,1] neg_hi:[0,0,1]
	v_pk_fma_f32 v[66:67], v[66:67], v[128:129], v[22:23] op_sel:[0,0,1] op_sel_hi:[0,1,0]
	v_pk_fma_f32 v[18:19], v[60:61], v[130:131], v[96:97] op_sel:[0,0,1] op_sel_hi:[1,1,0] neg_lo:[0,0,1] neg_hi:[0,0,1]
	v_pk_fma_f32 v[96:97], v[60:61], v[130:131], v[96:97] op_sel:[0,0,1] op_sel_hi:[0,1,0]
	v_pk_fma_f32 v[22:23], v[68:69], v[126:127], v[100:101] op_sel:[0,0,1] op_sel_hi:[1,1,0] neg_lo:[0,0,1] neg_hi:[0,0,1]
	v_pk_fma_f32 v[68:69], v[68:69], v[126:127], v[100:101] op_sel:[0,0,1] op_sel_hi:[0,1,0]
	v_mov_b32_e32 v15, v65
	v_mov_b32_e32 v63, v81
	v_pk_fma_f32 v[60:61], v[82:83], v[132:133], v[106:107] op_sel:[0,0,1] op_sel_hi:[1,1,0] neg_lo:[0,0,1] neg_hi:[0,0,1]
	v_pk_fma_f32 v[82:83], v[82:83], v[132:133], v[106:107] op_sel:[0,0,1] op_sel_hi:[0,1,0]
	v_mov_b32_e32 v19, v97
	v_mov_b32_e32 v23, v69
	v_pk_add_f32 v[64:65], v[14:15], v[62:63]
	v_pk_fma_f32 v[20:21], v[70:71], v[120:121], v[102:103] op_sel:[0,0,1] op_sel_hi:[1,1,0] neg_lo:[0,0,1] neg_hi:[0,0,1]
	v_pk_fma_f32 v[70:71], v[70:71], v[120:121], v[102:103] op_sel:[0,0,1] op_sel_hi:[0,1,0]
	v_mov_b32_e32 v61, v83
	v_mov_b32_e32 v98, v83
	v_pk_add_f32 v[102:103], v[18:19], v[22:23] neg_lo:[0,1] neg_hi:[0,1]
	v_pk_add_f32 v[80:81], v[18:19], v[14:15] neg_lo:[0,1] neg_hi:[0,1]
	;; [unrolled: 1-line block ×3, first 2 shown]
	v_pk_fma_f32 v[64:65], v[64:65], 0.5, v[0:1] op_sel_hi:[1,0,1] neg_lo:[1,0,0] neg_hi:[1,0,0]
	v_accvgpr_write_b32 a4, v116
	v_mov_b32_e32 v3, v67
	v_pk_add_f32 v[100:101], v[14:15], v[62:63] neg_lo:[0,1] neg_hi:[0,1]
	v_pk_add_f32 v[82:83], v[80:81], v[82:83]
	v_pk_fma_f32 v[80:81], v[102:103], s[14:15], v[64:65] op_sel:[1,0,0] op_sel_hi:[0,0,1] neg_lo:[1,0,0] neg_hi:[1,0,0]
	v_accvgpr_write_b32 a5, v117
	v_accvgpr_write_b32 a6, v118
	;; [unrolled: 1-line block ×4, first 2 shown]
	v_mov_b32_e32 v13, v115
	v_mov_b32_e32 v17, v99
	;; [unrolled: 1-line block ×7, first 2 shown]
	v_pk_fma_f32 v[116:117], v[100:101], s[2:3], v[80:81] op_sel:[1,0,0] op_sel_hi:[0,0,1]
	v_pk_add_f32 v[80:81], v[2:3], v[60:61]
	v_accvgpr_write_b32 a13, v121
	v_accvgpr_write_b32 a14, v122
	;; [unrolled: 1-line block ×3, first 2 shown]
	v_mov_b32_e32 v66, v67
	v_mov_b32_e32 v67, v2
	v_mov_b32_e32 v99, v60
	v_pk_add_f32 v[106:107], v[96:97], v[70:71] neg_lo:[0,1] neg_hi:[0,1]
	v_pk_fma_f32 v[80:81], v[80:81], 0.5, v[12:13] op_sel_hi:[1,0,1] neg_lo:[1,0,0] neg_hi:[1,0,0]
	v_pk_add_f32 v[118:119], v[16:17], v[2:3] neg_lo:[0,1] neg_hi:[0,1]
	v_pk_add_f32 v[120:121], v[20:21], v[60:61] neg_lo:[0,1] neg_hi:[0,1]
	;; [unrolled: 1-line block ×3, first 2 shown]
	v_pk_fma_f32 v[64:65], v[102:103], s[14:15], v[64:65] op_sel:[1,0,0] op_sel_hi:[0,0,1]
	v_pk_add_f32 v[118:119], v[118:119], v[120:121]
	v_pk_fma_f32 v[120:121], v[106:107], s[14:15], v[80:81] op_sel_hi:[1,0,1] neg_lo:[1,0,0] neg_hi:[1,0,0]
	v_pk_fma_f32 v[80:81], v[106:107], s[14:15], v[80:81] op_sel_hi:[1,0,1]
	v_mov_b32_e32 v68, v115
	v_pk_fma_f32 v[114:115], v[100:101], s[2:3], v[64:65] op_sel:[1,0,0] op_sel_hi:[0,0,1] neg_lo:[1,0,0] neg_hi:[1,0,0]
	v_pk_fma_f32 v[122:123], v[104:105], s[2:3], v[80:81] op_sel_hi:[1,0,1] neg_lo:[1,0,0] neg_hi:[1,0,0]
	v_pk_fma_f32 v[120:121], v[104:105], s[2:3], v[120:121] op_sel_hi:[1,0,1]
	v_mov_b32_e32 v64, v116
	v_mov_b32_e32 v65, v115
	;; [unrolled: 1-line block ×6, first 2 shown]
	v_pk_fma_f32 v[64:65], v[82:83], s[10:11], v[64:65] op_sel_hi:[1,0,1]
	v_pk_fma_f32 v[80:81], v[118:119], s[10:11], v[80:81] op_sel_hi:[1,0,1]
	;; [unrolled: 1-line block ×4, first 2 shown]
	v_pk_add_f32 v[118:119], v[18:19], v[22:23]
	v_pk_add_f32 v[120:121], v[14:15], v[18:19] neg_lo:[0,1] neg_hi:[0,1]
	v_pk_fma_f32 v[118:119], v[118:119], 0.5, v[0:1] op_sel_hi:[1,0,1] neg_lo:[1,0,0] neg_hi:[1,0,0]
	v_pk_add_f32 v[122:123], v[62:63], v[22:23] neg_lo:[0,1] neg_hi:[0,1]
	v_mov_b32_e32 v69, v12
	v_pk_add_f32 v[120:121], v[120:121], v[122:123]
	v_pk_fma_f32 v[122:123], v[100:101], s[14:15], v[118:119] op_sel:[1,0,0] op_sel_hi:[0,0,1] neg_lo:[1,0,0] neg_hi:[1,0,0]
	v_pk_fma_f32 v[100:101], v[100:101], s[14:15], v[118:119] op_sel:[1,0,0] op_sel_hi:[0,0,1]
	v_pk_fma_f32 v[118:119], v[102:103], s[2:3], v[100:101] op_sel:[1,0,0] op_sel_hi:[0,0,1]
	v_pk_fma_f32 v[102:103], v[102:103], s[2:3], v[122:123] op_sel:[1,0,0] op_sel_hi:[0,0,1] neg_lo:[1,0,0] neg_hi:[1,0,0]
	v_mov_b32_e32 v100, v102
	v_mov_b32_e32 v101, v119
	v_pk_fma_f32 v[122:123], v[120:121], s[10:11], v[100:101] op_sel_hi:[1,0,1]
	v_pk_add_f32 v[100:101], v[96:97], v[70:71]
	v_pk_add_f32 v[66:67], v[66:67], v[96:97] neg_lo:[0,1] neg_hi:[0,1]
	v_pk_fma_f32 v[68:69], v[100:101], 0.5, v[68:69] op_sel_hi:[1,0,1] neg_lo:[1,0,0] neg_hi:[1,0,0]
	v_pk_mul_f32 v[100:101], v[104:105], s[14:15] op_sel_hi:[1,0]
	v_pk_add_f32 v[70:71], v[98:99], v[70:71] neg_lo:[0,1] neg_hi:[0,1]
	v_pk_mul_f32 v[104:105], v[106:107], s[2:3] op_sel_hi:[1,0]
	v_pk_add_f32 v[66:67], v[66:67], v[70:71]
	v_pk_add_f32 v[70:71], v[68:69], v[100:101] op_sel:[0,1] op_sel_hi:[1,0]
	v_pk_add_f32 v[68:69], v[68:69], v[100:101] op_sel:[0,1] op_sel_hi:[1,0] neg_lo:[0,1] neg_hi:[0,1]
	v_accvgpr_write_b32 a16, v124
	v_pk_add_f32 v[106:107], v[68:69], v[104:105] op_sel:[0,1] op_sel_hi:[1,0] neg_lo:[0,1] neg_hi:[0,1]
	v_pk_add_f32 v[104:105], v[70:71], v[104:105] op_sel:[0,1] op_sel_hi:[1,0]
	v_mov_b32_e32 v69, v107
	v_mov_b32_e32 v68, v104
	v_pk_fma_f32 v[68:69], v[66:67], s[10:11], v[68:69] op_sel_hi:[1,0,1]
	v_accvgpr_write_b32 a20, v128
	v_accvgpr_write_b32 a17, v125
	v_accvgpr_write_b32 a18, v126
	v_accvgpr_write_b32 a19, v127
	v_pk_mul_f32 v[124:125], v[80:81], s[14:15] op_sel_hi:[1,0]
	v_pk_mul_f32 v[70:71], v[68:69], s[18:19] op_sel_hi:[1,0]
	v_accvgpr_write_b32 a21, v129
	v_accvgpr_write_b32 a22, v130
	;; [unrolled: 1-line block ×3, first 2 shown]
	v_pk_fma_f32 v[128:129], v[80:81], s[10:11], v[124:125] op_sel:[0,0,1] op_sel_hi:[1,0,0]
	v_pk_fma_f32 v[80:81], v[80:81], s[10:11], v[124:125] op_sel:[0,0,1] op_sel_hi:[1,0,0] neg_lo:[0,0,1] neg_hi:[0,0,1]
	v_pk_fma_f32 v[124:125], v[68:69], s[2:3], v[70:71] op_sel:[0,0,1] op_sel_hi:[1,1,0] neg_lo:[0,0,1] neg_hi:[0,0,1]
	s_waitcnt vmcnt(0)
	v_mov_b32_e32 v68, v59
	s_waitcnt lgkmcnt(3)
	v_pk_mul_f32 v[68:69], v[72:73], v[68:69] op_sel_hi:[1,0]
	v_accvgpr_write_b32 a24, v132
	v_pk_fma_f32 v[70:71], v[72:73], v[58:59], v[68:69] op_sel:[0,0,1] op_sel_hi:[1,1,0] neg_lo:[0,0,1] neg_hi:[0,0,1]
	v_pk_fma_f32 v[68:69], v[72:73], v[58:59], v[68:69] op_sel:[0,0,1] op_sel_hi:[1,0,0]
	v_accvgpr_write_b32 a25, v133
	v_mov_b32_e32 v68, v55
	v_mov_b32_e32 v71, v69
	s_waitcnt lgkmcnt(2)
	v_pk_mul_f32 v[68:69], v[88:89], v[68:69] op_sel_hi:[1,0]
	v_pk_add_f32 v[100:101], v[92:93], v[70:71]
	v_pk_fma_f32 v[72:73], v[88:89], v[54:55], v[68:69] op_sel:[0,0,1] op_sel_hi:[1,1,0] neg_lo:[0,0,1] neg_hi:[0,0,1]
	v_pk_fma_f32 v[68:69], v[88:89], v[54:55], v[68:69] op_sel:[0,0,1] op_sel_hi:[1,0,0]
	v_accvgpr_write_b32 a34, v134
	v_mov_b32_e32 v68, v51
	v_mov_b32_e32 v73, v69
	s_waitcnt lgkmcnt(1)
	v_pk_mul_f32 v[68:69], v[84:85], v[68:69] op_sel_hi:[1,0]
	v_pk_add_f32 v[130:131], v[70:71], v[72:73] neg_lo:[0,1] neg_hi:[0,1]
	v_pk_fma_f32 v[88:89], v[84:85], v[50:51], v[68:69] op_sel:[0,0,1] op_sel_hi:[1,1,0] neg_lo:[0,0,1] neg_hi:[0,0,1]
	v_pk_fma_f32 v[68:69], v[84:85], v[50:51], v[68:69] op_sel:[0,0,1] op_sel_hi:[1,0,0]
	v_pk_add_f32 v[100:101], v[100:101], v[72:73]
	v_mov_b32_e32 v68, v47
	v_mov_b32_e32 v89, v69
	s_waitcnt lgkmcnt(0)
	v_pk_mul_f32 v[68:69], v[76:77], v[68:69] op_sel_hi:[1,0]
	v_pk_add_f32 v[98:99], v[72:73], v[88:89] neg_lo:[0,1] neg_hi:[0,1]
	v_pk_fma_f32 v[84:85], v[76:77], v[46:47], v[68:69] op_sel:[0,0,1] op_sel_hi:[1,1,0] neg_lo:[0,0,1] neg_hi:[0,0,1]
	v_pk_fma_f32 v[68:69], v[76:77], v[46:47], v[68:69] op_sel:[0,0,1] op_sel_hi:[1,0,0]
	v_pk_add_f32 v[100:101], v[100:101], v[88:89]
	v_mov_b32_e32 v85, v69
	v_pk_add_f32 v[68:69], v[72:73], v[88:89]
	v_pk_add_f32 v[76:77], v[70:71], v[84:85] neg_lo:[0,1] neg_hi:[0,1]
	v_pk_fma_f32 v[68:69], v[68:69], 0.5, v[92:93] op_sel_hi:[1,0,1] neg_lo:[1,0,0] neg_hi:[1,0,0]
	v_pk_add_f32 v[132:133], v[84:85], v[88:89] neg_lo:[0,1] neg_hi:[0,1]
	v_pk_fma_f32 v[96:97], v[76:77], s[14:15], v[68:69] op_sel:[1,0,0] op_sel_hi:[0,0,1] neg_lo:[1,0,0] neg_hi:[1,0,0]
	v_pk_fma_f32 v[68:69], v[76:77], s[14:15], v[68:69] op_sel:[1,0,0] op_sel_hi:[0,0,1]
	v_pk_fma_f32 v[96:97], v[98:99], s[2:3], v[96:97] op_sel:[1,0,0] op_sel_hi:[0,0,1] neg_lo:[1,0,0] neg_hi:[1,0,0]
	v_pk_fma_f32 v[126:127], v[98:99], s[2:3], v[68:69] op_sel:[1,0,0] op_sel_hi:[0,0,1]
	v_mov_b32_e32 v68, v126
	v_mov_b32_e32 v69, v97
	v_pk_add_f32 v[130:131], v[130:131], v[132:133]
	v_accvgpr_write_b32 a35, v135
	v_pk_fma_f32 v[132:133], v[130:131], s[10:11], v[68:69] op_sel_hi:[1,0,1]
	v_pk_add_f32 v[68:69], v[70:71], v[84:85]
	v_pk_add_f32 v[70:71], v[72:73], v[70:71] neg_lo:[0,1] neg_hi:[0,1]
	v_pk_fma_f32 v[68:69], v[68:69], 0.5, v[92:93] op_sel_hi:[1,0,1] neg_lo:[1,0,0] neg_hi:[1,0,0]
	v_pk_add_f32 v[72:73], v[88:89], v[84:85] neg_lo:[0,1] neg_hi:[0,1]
	v_pk_fma_f32 v[92:93], v[98:99], s[14:15], v[68:69] op_sel:[1,0,0] op_sel_hi:[0,0,1] neg_lo:[1,0,0] neg_hi:[1,0,0]
	v_pk_fma_f32 v[68:69], v[98:99], s[14:15], v[68:69] op_sel:[1,0,0] op_sel_hi:[0,0,1]
	v_pk_fma_f32 v[68:69], v[76:77], s[2:3], v[68:69] op_sel:[1,0,0] op_sel_hi:[0,0,1] neg_lo:[1,0,0] neg_hi:[1,0,0]
	v_pk_fma_f32 v[76:77], v[76:77], s[2:3], v[92:93] op_sel:[1,0,0] op_sel_hi:[0,0,1]
	v_mov_b32_e32 v93, v69
	v_pk_add_f32 v[70:71], v[70:71], v[72:73]
	v_mov_b32_e32 v69, v77
	v_mov_b32_e32 v92, v76
	v_pk_fma_f32 v[76:77], v[70:71], s[10:11], v[68:69] op_sel_hi:[1,0,1]
	v_pk_mul_f32 v[68:69], v[94:95], v[56:57] op_sel:[0,1]
	v_pk_fma_f32 v[72:73], v[70:71], s[10:11], v[92:93] op_sel_hi:[1,0,1]
	v_pk_fma_f32 v[70:71], v[94:95], v[56:57], v[68:69] op_sel:[0,0,1] op_sel_hi:[1,1,0] neg_lo:[0,0,1] neg_hi:[0,0,1]
	v_pk_fma_f32 v[68:69], v[94:95], v[56:57], v[68:69] op_sel:[0,0,1] op_sel_hi:[1,0,0]
	v_pk_mul_f32 v[94:95], v[74:75], v[52:53] op_sel:[0,1]
	v_pk_add_f32 v[88:89], v[100:101], v[84:85]
	v_pk_mul_f32 v[84:85], v[90:91], v[48:49] op_sel:[0,1]
	v_pk_fma_f32 v[98:99], v[74:75], v[52:53], v[94:95] op_sel:[0,0,1] op_sel_hi:[1,1,0] neg_lo:[0,0,1] neg_hi:[0,0,1]
	v_pk_fma_f32 v[74:75], v[74:75], v[52:53], v[94:95] op_sel:[0,0,1] op_sel_hi:[1,0,0]
	v_pk_fma_f32 v[92:93], v[90:91], v[48:49], v[84:85] op_sel:[0,0,1] op_sel_hi:[1,1,0] neg_lo:[0,0,1] neg_hi:[0,0,1]
	v_pk_fma_f32 v[84:85], v[90:91], v[48:49], v[84:85] op_sel:[0,0,1] op_sel_hi:[1,0,0]
	v_mov_b32_e32 v99, v75
	v_pk_mul_f32 v[74:75], v[78:79], v[134:135] op_sel:[0,1]
	v_mov_b32_e32 v93, v85
	v_pk_mul_f32 v[84:85], v[86:87], v[44:45] op_sel:[0,1]
	v_pk_fma_f32 v[94:95], v[78:79], v[134:135], v[74:75] op_sel:[0,0,1] op_sel_hi:[1,1,0] neg_lo:[0,0,1] neg_hi:[0,0,1]
	v_pk_fma_f32 v[74:75], v[78:79], v[134:135], v[74:75] op_sel:[0,0,1] op_sel_hi:[1,0,0]
	v_pk_fma_f32 v[90:91], v[86:87], v[44:45], v[84:85] op_sel:[0,0,1] op_sel_hi:[1,1,0] neg_lo:[0,0,1] neg_hi:[0,0,1]
	v_pk_fma_f32 v[84:85], v[86:87], v[44:45], v[84:85] op_sel:[0,0,1] op_sel_hi:[1,0,0]
	v_mov_b32_e32 v95, v75
	v_mov_b32_e32 v91, v85
	v_pk_add_f32 v[74:75], v[98:99], v[94:95]
	v_mov_b32_e32 v71, v69
	v_pk_add_f32 v[84:85], v[92:93], v[90:91]
	v_mul_f32_e32 v79, 0.5, v74
	v_mul_f32_e32 v78, 0.5, v75
	v_pk_add_f32 v[74:75], v[98:99], v[94:95] neg_lo:[0,1] neg_hi:[0,1]
	v_pk_add_f32 v[134:135], v[98:99], v[92:93] neg_lo:[0,1] neg_hi:[0,1]
	;; [unrolled: 1-line block ×3, first 2 shown]
	v_pk_fma_f32 v[84:85], v[84:85], 0.5, v[70:71] op_sel_hi:[1,0,1] neg_lo:[1,0,0] neg_hi:[1,0,0]
	v_pk_add_f32 v[134:135], v[134:135], v[136:137]
	v_pk_mul_f32 v[136:137], v[74:75], s[14:15] op_sel_hi:[1,0]
	v_pk_add_f32 v[86:87], v[92:93], v[90:91] neg_lo:[0,1] neg_hi:[0,1]
	v_pk_add_f32 v[138:139], v[84:85], v[136:137] op_sel:[0,1] op_sel_hi:[1,0]
	v_mov_b32_e32 v68, v69
	v_mov_b32_e32 v69, v70
	v_pk_add_f32 v[84:85], v[84:85], v[136:137] op_sel:[0,1] op_sel_hi:[1,0] neg_lo:[0,1] neg_hi:[0,1]
	v_pk_add_f32 v[100:101], v[70:71], v[98:99]
	v_pk_add_f32 v[68:69], v[68:69], v[78:79] neg_lo:[0,1] neg_hi:[0,1]
	v_pk_mul_f32 v[70:71], v[86:87], s[14:15] op_sel:[1,0] op_sel_hi:[0,0]
	v_pk_fma_f32 v[84:85], v[86:87], s[2:3], v[84:85] op_sel:[1,0,0] op_sel_hi:[0,0,1] neg_lo:[1,0,0] neg_hi:[1,0,0]
	v_pk_fma_f32 v[86:87], v[86:87], s[2:3], v[138:139] op_sel:[1,0,0] op_sel_hi:[0,0,1]
	v_pk_add_f32 v[78:79], v[68:69], v[70:71] op_sel:[0,1] op_sel_hi:[1,0] neg_lo:[0,1] neg_hi:[0,1]
	v_mov_b32_e32 v136, v86
	v_mov_b32_e32 v137, v85
	;; [unrolled: 1-line block ×3, first 2 shown]
	v_pk_fma_f32 v[136:137], v[134:135], s[10:11], v[136:137] op_sel_hi:[1,0,1]
	v_pk_fma_f32 v[134:135], v[134:135], s[10:11], v[84:85] op_sel_hi:[1,0,1]
	v_pk_add_f32 v[68:69], v[70:71], v[68:69] op_sel:[1,0] op_sel_hi:[0,1]
	v_pk_fma_f32 v[70:71], v[74:75], s[2:3], v[78:79] op_sel_hi:[1,0,1]
	v_pk_add_f32 v[78:79], v[92:93], v[98:99] neg_lo:[0,1] neg_hi:[0,1]
	v_pk_add_f32 v[84:85], v[90:91], v[94:95] neg_lo:[0,1] neg_hi:[0,1]
	v_pk_fma_f32 v[68:69], v[74:75], s[2:3], v[68:69] op_sel_hi:[1,0,1] neg_lo:[1,0,0] neg_hi:[1,0,0]
	v_pk_add_f32 v[78:79], v[78:79], v[84:85]
	v_mov_b32_e32 v74, v68
	v_mov_b32_e32 v75, v71
	v_pk_mul_f32 v[78:79], v[78:79], s[10:11] op_sel_hi:[1,0]
	v_pk_add_f32 v[0:1], v[0:1], v[14:15]
	v_pk_add_f32 v[2:3], v[12:13], v[2:3]
	;; [unrolled: 1-line block ×3, first 2 shown]
	v_pk_add_f32 v[74:75], v[78:79], v[74:75] op_sel:[1,0] op_sel_hi:[0,1]
	v_pk_add_f32 v[0:1], v[0:1], v[18:19]
	v_pk_add_f32 v[2:3], v[2:3], v[16:17]
	;; [unrolled: 1-line block ×3, first 2 shown]
	v_mov_b32_e32 v71, v69
	v_pk_mul_f32 v[84:85], v[74:75], s[14:15] op_sel_hi:[1,0]
	v_pk_add_f32 v[0:1], v[0:1], v[22:23]
	v_pk_add_f32 v[2:3], v[2:3], v[20:21]
	v_mov_b32_e32 v129, v81
	v_pk_add_f32 v[100:101], v[100:101], v[94:95]
	v_pk_add_f32 v[78:79], v[78:79], v[70:71] op_sel:[1,0] op_sel_hi:[0,1]
	v_pk_fma_f32 v[86:87], v[74:75], s[10:11], v[84:85] op_sel:[0,0,1] op_sel_hi:[1,0,0]
	v_pk_fma_f32 v[74:75], v[74:75], s[10:11], v[84:85] op_sel:[0,0,1] op_sel_hi:[1,0,0] neg_lo:[0,0,1] neg_hi:[0,0,1]
	v_pk_add_f32 v[0:1], v[0:1], v[62:63]
	v_pk_add_f32 v[2:3], v[2:3], v[60:61]
	v_mov_b32_e32 v107, v105
	v_pk_add_f32 v[68:69], v[88:89], v[100:101]
	v_pk_mul_f32 v[70:71], v[136:137], s[2:3] op_sel_hi:[1,0]
	v_mov_b32_e32 v93, v74
	s_mov_b32 s15, s16
	v_pk_mul_f32 v[74:75], v[78:79], s[10:11] op_sel_hi:[1,0]
	v_pk_add_f32 v[94:95], v[88:89], v[100:101] neg_lo:[0,1] neg_hi:[0,1]
	v_pk_add_f32 v[100:101], v[0:1], v[2:3]
	v_pk_fma_f32 v[14:15], v[66:67], s[10:11], v[106:107] op_sel_hi:[1,0,1]
	v_pk_add_f32 v[106:107], v[0:1], v[2:3] neg_lo:[0,1] neg_hi:[0,1]
	v_pk_add_f32 v[2:3], v[64:65], v[128:129] neg_lo:[0,1] neg_hi:[0,1]
	v_pk_mul_f32 v[116:117], v[82:83], s[10:11] op_sel_hi:[1,0]
	v_pk_fma_f32 v[90:91], v[136:137], s[18:19], v[70:71] op_sel:[0,0,1] op_sel_hi:[1,0,0]
	v_pk_fma_f32 v[70:71], v[136:137], s[18:19], v[70:71] op_sel:[0,0,1] op_sel_hi:[1,0,0] neg_lo:[0,0,1] neg_hi:[0,0,1]
	v_pk_fma_f32 v[74:75], v[78:79], s[14:15], v[74:75] op_sel:[0,0,1] op_sel_hi:[1,1,0] neg_lo:[0,0,1] neg_hi:[0,0,1]
	s_mov_b32 s14, s3
	s_mov_b32 s15, s2
	v_pk_mul_f32 v[16:17], v[14:15], s[2:3] op_sel_hi:[1,0]
	v_accvgpr_write_b32 a37, v3
	v_pk_fma_f32 v[116:117], v[82:83], s[16:17], v[116:117] op_sel:[0,0,1] op_sel_hi:[1,1,0] neg_lo:[0,0,1] neg_hi:[0,0,1]
	v_mov_b32_e32 v91, v71
	v_mov_b32_e32 v92, v87
	v_pk_mul_f32 v[78:79], v[134:135], s[14:15]
	v_mov_b32_e32 v97, v127
	v_mov_b32_e32 v119, v103
	v_pk_fma_f32 v[18:19], v[14:15], s[18:19], v[16:17] op_sel:[0,0,1] op_sel_hi:[1,0,0]
	v_pk_fma_f32 v[14:15], v[14:15], s[18:19], v[16:17] op_sel:[0,0,1] op_sel_hi:[1,0,0] neg_lo:[0,0,1] neg_hi:[0,0,1]
	v_accvgpr_write_b32 a36, v2
	v_pk_add_f32 v[2:3], v[122:123], v[124:125] neg_lo:[0,1] neg_hi:[0,1]
	v_pk_add_f32 v[70:71], v[132:133], v[90:91]
	v_pk_add_f32 v[84:85], v[72:73], v[92:93]
	v_pk_add_f32 v[88:89], v[132:133], v[90:91] neg_lo:[0,1] neg_hi:[0,1]
	v_pk_add_f32 v[90:91], v[72:73], v[92:93] neg_lo:[0,1] neg_hi:[0,1]
	v_pk_fma_f32 v[72:73], v[130:131], s[10:11], v[96:97] op_sel_hi:[1,0,1]
	v_pk_fma_f32 v[78:79], v[134:135], s[18:19], v[78:79] op_sel:[0,0,1] op_sel_hi:[1,0,0] neg_lo:[1,0,0] neg_hi:[1,0,0]
	v_pk_fma_f32 v[12:13], v[120:121], s[10:11], v[118:119] op_sel_hi:[1,0,1]
	v_mov_b32_e32 v16, v19
	v_mov_b32_e32 v17, v14
	v_pk_add_f32 v[0:1], v[114:115], v[116:117] op_sel:[0,1] op_sel_hi:[1,0] neg_lo:[0,1] neg_hi:[0,1]
	v_pk_add_f32 v[80:81], v[64:65], v[128:129]
	v_accvgpr_write_b32 a43, v3
	v_pk_add_f32 v[82:83], v[114:115], v[116:117] op_sel:[0,1] op_sel_hi:[1,0]
	v_pk_add_f32 v[86:87], v[76:77], v[74:75]
	v_pk_add_f32 v[92:93], v[72:73], v[78:79]
	v_pk_add_f32 v[96:97], v[76:77], v[74:75] neg_lo:[0,1] neg_hi:[0,1]
	v_pk_add_f32 v[98:99], v[72:73], v[78:79] neg_lo:[0,1] neg_hi:[0,1]
	v_pk_add_f32 v[102:103], v[12:13], v[16:17]
	v_pk_add_f32 v[104:105], v[122:123], v[124:125]
	v_pk_add_f32 v[126:127], v[12:13], v[16:17] neg_lo:[0,1] neg_hi:[0,1]
	v_accvgpr_write_b32 a42, v2
	v_accvgpr_write_b32 a41, v1
	;; [unrolled: 1-line block ×3, first 2 shown]
	ds_write2_b64 v140, v[68:69], v[70:71] offset1:204
	ds_write2_b64 v108, v[84:85], v[86:87] offset0:24 offset1:228
	ds_write2_b64 v109, v[92:93], v[94:95] offset0:48 offset1:252
	;; [unrolled: 1-line block ×4, first 2 shown]
	s_and_saveexec_b64 s[2:3], s[0:1]
	s_cbranch_execz .LBB0_11
; %bb.10:
	v_add_u32_e32 v0, 0x400, v140
	ds_write2_b64 v0, v[100:101], v[102:103] offset0:42 offset1:246
	v_add_u32_e32 v0, 0x1200, v140
	ds_write2_b64 v0, v[80:81], v[82:83] offset0:2 offset1:206
	v_add_u32_e32 v0, 0x1e00, v140
	v_accvgpr_read_b32 v2, a36
	ds_write2_b64 v0, v[104:105], v[106:107] offset0:26 offset1:230
	v_add_u32_e32 v0, 0x2a00, v140
	v_accvgpr_read_b32 v3, a37
	v_accvgpr_read_b32 v12, a40
	ds_write2_b64 v0, v[126:127], v[2:3] offset0:50 offset1:254
	v_add_u32_e32 v0, 0x3800, v140
	v_accvgpr_read_b32 v13, a41
	v_accvgpr_read_b32 v14, a42
	;; [unrolled: 1-line block ×3, first 2 shown]
	ds_write2_b64 v0, v[12:13], v[14:15] offset0:10 offset1:214
.LBB0_11:
	s_or_b64 exec, exec, s[2:3]
	s_waitcnt lgkmcnt(0)
	s_barrier
	s_and_saveexec_b64 s[10:11], vcc
	s_cbranch_execz .LBB0_13
; %bb.12:
	s_add_u32 s14, s8, 0x3fc0
	s_addc_u32 s15, s9, 0
	global_load_dwordx2 v[0:1], v110, s[14:15]
	v_mov_b32_e32 v111, 0
	s_movk_i32 s2, 0x1000
	v_lshl_add_u64 v[2:3], s[14:15], 0, v[110:111]
	v_add_co_u32_e64 v12, s[2:3], s2, v2
	global_load_dwordx2 v[64:65], v110, s[14:15] offset:960
	global_load_dwordx2 v[66:67], v110, s[14:15] offset:1920
	;; [unrolled: 1-line block ×4, first 2 shown]
	v_addc_co_u32_e64 v13, s[2:3], 0, v3, s[2:3]
	global_load_dwordx2 v[76:77], v[12:13], off offset:704
	global_load_dwordx2 v[78:79], v[12:13], off offset:1664
	;; [unrolled: 1-line block ×4, first 2 shown]
	s_movk_i32 s16, 0x2000
	v_add_co_u32_e64 v12, s[2:3], s16, v2
	v_or_b32_e32 v14, 0x3c00, v110
	s_nop 0
	v_addc_co_u32_e64 v13, s[2:3], 0, v3, s[2:3]
	global_load_dwordx2 v[114:115], v[12:13], off offset:448
	global_load_dwordx2 v[116:117], v[12:13], off offset:1408
	;; [unrolled: 1-line block ×4, first 2 shown]
	s_movk_i32 s2, 0x3000
	v_add_co_u32_e64 v2, s[2:3], s2, v2
	ds_read_b64 v[12:13], v140
	s_nop 0
	v_addc_co_u32_e64 v3, s[2:3], 0, v3, s[2:3]
	global_load_dwordx2 v[122:123], v[2:3], off offset:192
	global_load_dwordx2 v[124:125], v[2:3], off offset:1152
	;; [unrolled: 1-line block ×3, first 2 shown]
	global_load_dwordx2 v[130:131], v14, s[14:15]
	v_add_u32_e32 v111, 0x800, v110
	v_add_u32_e32 v134, 0x1000, v110
	;; [unrolled: 1-line block ×4, first 2 shown]
	s_waitcnt vmcnt(16) lgkmcnt(0)
	v_mul_f32_e32 v2, v13, v1
	v_mul_f32_e32 v3, v12, v1
	v_fma_f32 v2, v12, v0, -v2
	v_fmac_f32_e32 v3, v13, v0
	ds_write_b64 v140, v[2:3]
	ds_read2_b64 v[0:3], v110 offset0:120 offset1:240
	ds_read2_b64 v[12:15], v111 offset0:104 offset1:224
	;; [unrolled: 1-line block ×5, first 2 shown]
	s_waitcnt vmcnt(15) lgkmcnt(4)
	v_mul_f32_e32 v132, v1, v65
	v_mul_f32_e32 v133, v0, v65
	s_waitcnt vmcnt(14)
	v_mul_f32_e32 v137, v3, v67
	v_mul_f32_e32 v65, v2, v67
	s_waitcnt vmcnt(13) lgkmcnt(3)
	v_mul_f32_e32 v138, v13, v73
	v_mul_f32_e32 v67, v12, v73
	s_waitcnt vmcnt(12)
	v_mul_f32_e32 v139, v15, v75
	v_mul_f32_e32 v73, v14, v75
	;; [unrolled: 6-line block ×4, first 2 shown]
	v_fma_f32 v132, v0, v64, -v132
	v_fmac_f32_e32 v133, v1, v64
	v_fma_f32 v64, v2, v66, -v137
	v_fmac_f32_e32 v65, v3, v66
	v_fma_f32 v66, v12, v72, -v138
	v_fmac_f32_e32 v67, v13, v72
	v_fma_f32 v72, v14, v74, -v139
	v_fmac_f32_e32 v73, v15, v74
	v_fma_f32 v74, v16, v76, -v142
	v_fmac_f32_e32 v75, v17, v76
	v_fma_f32 v76, v18, v78, -v143
	v_fmac_f32_e32 v77, v19, v78
	v_fma_f32 v78, v20, v108, -v144
	v_fmac_f32_e32 v79, v21, v108
	v_fma_f32 v108, v22, v112, -v145
	v_fmac_f32_e32 v109, v23, v112
	ds_write2_b64 v110, v[132:133], v[64:65] offset0:120 offset1:240
	ds_write2_b64 v111, v[66:67], v[72:73] offset0:104 offset1:224
	;; [unrolled: 1-line block ×4, first 2 shown]
	v_add_u32_e32 v18, 0x2800, v110
	ds_read2_b64 v[0:3], v18 offset0:40 offset1:160
	s_waitcnt vmcnt(7) lgkmcnt(5)
	v_mul_f32_e32 v146, v61, v115
	v_mul_f32_e32 v113, v60, v115
	s_waitcnt vmcnt(6)
	v_mul_f32_e32 v115, v63, v117
	v_mul_f32_e32 v13, v62, v117
	v_fma_f32 v112, v60, v114, -v146
	v_fmac_f32_e32 v113, v61, v114
	v_fma_f32 v12, v62, v116, -v115
	v_fmac_f32_e32 v13, v63, v116
	ds_write2_b64 v136, v[112:113], v[12:13] offset0:56 offset1:176
	s_waitcnt vmcnt(5) lgkmcnt(1)
	v_mul_f32_e32 v12, v1, v119
	v_add_u32_e32 v19, 0x3000, v110
	v_fma_f32 v16, v0, v118, -v12
	ds_read2_b64 v[12:15], v19 offset0:24 offset1:144
	v_mul_f32_e32 v17, v0, v119
	v_fmac_f32_e32 v17, v1, v118
	s_waitcnt vmcnt(4)
	v_mul_f32_e32 v0, v3, v121
	v_mul_f32_e32 v1, v2, v121
	v_fma_f32 v0, v2, v120, -v0
	v_fmac_f32_e32 v1, v3, v120
	ds_write2_b64 v18, v[16:17], v[0:1] offset0:40 offset1:160
	s_waitcnt vmcnt(3) lgkmcnt(1)
	v_mul_f32_e32 v0, v13, v123
	v_add_u32_e32 v18, 0x3800, v110
	v_fma_f32 v16, v12, v122, -v0
	ds_read2_b64 v[0:3], v18 offset0:8 offset1:128
	v_mul_f32_e32 v17, v12, v123
	v_fmac_f32_e32 v17, v13, v122
	s_waitcnt vmcnt(2)
	v_mul_f32_e32 v12, v15, v125
	v_mul_f32_e32 v13, v14, v125
	v_fma_f32 v12, v14, v124, -v12
	v_fmac_f32_e32 v13, v15, v124
	ds_write2_b64 v19, v[16:17], v[12:13] offset0:24 offset1:144
	s_waitcnt vmcnt(1) lgkmcnt(1)
	v_mul_f32_e32 v12, v1, v129
	v_mul_f32_e32 v13, v0, v129
	v_fma_f32 v12, v0, v128, -v12
	v_fmac_f32_e32 v13, v1, v128
	s_waitcnt vmcnt(0)
	v_mul_f32_e32 v0, v3, v131
	v_mul_f32_e32 v1, v2, v131
	v_fma_f32 v0, v2, v130, -v0
	v_fmac_f32_e32 v1, v3, v130
	ds_write2_b64 v18, v[12:13], v[0:1] offset0:8 offset1:128
.LBB0_13:
	s_or_b64 exec, exec, s[10:11]
	s_waitcnt lgkmcnt(0)
	s_barrier
	s_and_saveexec_b64 s[2:3], vcc
	s_cbranch_execz .LBB0_15
; %bb.14:
	v_add_u32_e32 v0, 0x400, v140
	ds_read2_b64 v[84:87], v0 offset0:112 offset1:232
	v_add_u32_e32 v0, 0xc00, v140
	ds_read2_b64 v[92:95], v0 offset0:96 offset1:216
	;; [unrolled: 2-line block ×6, first 2 shown]
	v_add_u32_e32 v0, 0x3400, v140
	ds_read2_b64 v[68:71], v140 offset1:120
	ds_read2_b64 v[104:107], v0 offset0:16 offset1:136
	ds_read_b64 v[126:127], v140 offset:15360
.LBB0_15:
	s_or_b64 exec, exec, s[2:3]
	s_waitcnt lgkmcnt(1)
	v_pk_add_f32 v[0:1], v[84:85], v[106:107] neg_lo:[0,1] neg_hi:[0,1]
	v_pk_add_f32 v[144:145], v[84:85], v[106:107]
	v_mov_b32_e32 v125, v0
	v_mov_b32_e32 v124, v144
	v_mov_b32_e32 v144, v1
	v_pk_add_f32 v[0:1], v[86:87], v[104:105] neg_lo:[0,1] neg_hi:[0,1]
	v_pk_add_f32 v[146:147], v[86:87], v[104:105]
	v_mov_b32_e32 v129, v0
	v_mov_b32_e32 v128, v146
	v_mov_b32_e32 v146, v1
	;; [unrolled: 5-line block ×5, first 2 shown]
	v_pk_add_f32 v[0:1], v[90:91], v[100:101] neg_lo:[0,1] neg_hi:[0,1]
	v_pk_add_f32 v[154:155], v[90:91], v[100:101]
	s_waitcnt lgkmcnt(0)
	v_pk_add_f32 v[180:181], v[126:127], v[70:71]
	v_pk_add_f32 v[2:3], v[70:71], v[126:127] neg_lo:[0,1] neg_hi:[0,1]
	v_mov_b32_e32 v136, v154
	v_mov_b32_e32 v137, v0
	;; [unrolled: 1-line block ×3, first 2 shown]
	v_pk_add_f32 v[0:1], v[96:97], v[98:99] neg_lo:[0,1] neg_hi:[0,1]
	v_pk_add_f32 v[156:157], v[96:97], v[98:99]
	s_mov_b32 s28, 0xbeb8f4ab
	v_mov_b32_e32 v138, v156
	v_mov_b32_e32 v139, v0
	v_mov_b32_e32 v156, v1
	v_mov_b32_e32 v0, v3
	v_mov_b32_e32 v1, v181
	s_mov_b32 s29, 0x3f6eb680
	v_accvgpr_write_b32 a44, v180
	s_mov_b32 s38, 0xbf2c7751
	v_pk_mul_f32 v[12:13], v[0:1], s[28:29]
	v_accvgpr_write_b32 a45, v181
	v_accvgpr_write_b32 a47, v3
	v_mov_b32_e32 v181, v2
	s_mov_b32 s2, s29
	s_mov_b32 s3, s28
	;; [unrolled: 1-line block ×3, first 2 shown]
	v_accvgpr_write_b32 a46, v2
	v_pk_fma_f32 v[2:3], v[180:181], s[2:3], v[12:13] neg_lo:[0,0,1] neg_hi:[0,0,1]
	v_accvgpr_write_b32 a49, v13
	v_pk_fma_f32 v[182:183], v[180:181], s[2:3], v[12:13]
	v_pk_mul_f32 v[14:15], v[144:145], s[38:39]
	s_mov_b32 s10, s39
	s_mov_b32 s11, s38
	;; [unrolled: 1-line block ×3, first 2 shown]
	v_accvgpr_write_b32 a48, v12
	v_mov_b32_e32 v3, v183
	v_pk_fma_f32 v[12:13], v[124:125], s[10:11], v[14:15] neg_lo:[0,0,1] neg_hi:[0,0,1]
	v_accvgpr_write_b32 a53, v15
	v_pk_fma_f32 v[186:187], v[124:125], s[10:11], v[14:15]
	s_mov_b32 s55, 0x3ee437d1
	v_pk_add_f32 v[2:3], v[68:69], v[2:3]
	v_accvgpr_write_b32 a52, v14
	v_mov_b32_e32 v13, v187
	v_pk_mul_f32 v[14:15], v[146:147], s[54:55]
	s_mov_b32 s62, s55
	s_mov_b32 s63, s54
	;; [unrolled: 1-line block ×3, first 2 shown]
	v_pk_add_f32 v[2:3], v[12:13], v[2:3]
	v_pk_fma_f32 v[12:13], v[128:129], s[62:63], v[14:15] neg_lo:[0,0,1] neg_hi:[0,0,1]
	v_accvgpr_write_b32 a51, v15
	v_pk_fma_f32 v[192:193], v[128:129], s[62:63], v[14:15]
	s_mov_b32 s41, 0x3dbcf732
	v_accvgpr_write_b32 a50, v14
	v_mov_b32_e32 v13, v193
	v_pk_mul_f32 v[14:15], v[148:149], s[40:41]
	s_mov_b32 s16, s41
	s_mov_b32 s17, s40
	v_pk_add_f32 v[2:3], v[12:13], v[2:3]
	v_pk_fma_f32 v[12:13], v[130:131], s[16:17], v[14:15] neg_lo:[0,0,1] neg_hi:[0,0,1]
	v_pk_fma_f32 v[196:197], v[130:131], s[16:17], v[14:15]
	v_accvgpr_write_b32 a55, v15
	v_mov_b32_e32 v13, v197
	v_pk_add_f32 v[158:159], v[12:13], v[2:3]
	v_pk_mul_f32 v[12:13], v[0:1], s[38:39]
	v_accvgpr_write_b32 a54, v14
	s_mov_b32 s34, 0xbf4c4adb
	v_pk_fma_f32 v[2:3], v[180:181], s[10:11], v[12:13] neg_lo:[0,0,1] neg_hi:[0,0,1]
	v_accvgpr_write_b32 a57, v13
	v_pk_fma_f32 v[198:199], v[180:181], s[10:11], v[12:13]
	v_pk_mul_f32 v[14:15], v[144:145], s[40:41]
	s_mov_b32 s35, 0xbf1a4643
	v_accvgpr_write_b32 a56, v12
	v_mov_b32_e32 v3, v199
	v_pk_fma_f32 v[12:13], v[124:125], s[16:17], v[14:15] neg_lo:[0,0,1] neg_hi:[0,0,1]
	v_accvgpr_write_b32 a59, v15
	v_pk_fma_f32 v[202:203], v[124:125], s[16:17], v[14:15]
	s_mov_b32 s22, s35
	s_mov_b32 s23, s34
	;; [unrolled: 1-line block ×3, first 2 shown]
	v_pk_add_f32 v[2:3], v[68:69], v[2:3]
	v_accvgpr_write_b32 a58, v14
	v_mov_b32_e32 v13, v203
	v_pk_mul_f32 v[14:15], v[146:147], s[34:35]
	s_mov_b32 s36, 0xbf06c442
	s_mov_b32 s43, 0xbf7ba420
	v_pk_add_f32 v[2:3], v[12:13], v[2:3]
	v_pk_fma_f32 v[12:13], v[128:129], s[22:23], v[14:15] neg_lo:[0,0,1] neg_hi:[0,0,1]
	v_accvgpr_write_b32 a61, v15
	v_pk_fma_f32 v[206:207], v[128:129], s[22:23], v[14:15]
	s_mov_b32 s37, 0xbf59a7d5
	s_mov_b32 s20, s43
	;; [unrolled: 1-line block ×3, first 2 shown]
	v_accvgpr_write_b32 a60, v14
	v_mov_b32_e32 v13, v207
	v_pk_mul_f32 v[14:15], v[148:149], s[42:43]
	s_mov_b32 s30, 0xbf763a35
	v_pk_add_f32 v[2:3], v[12:13], v[2:3]
	v_pk_fma_f32 v[12:13], v[130:131], s[20:21], v[14:15] neg_lo:[0,0,1] neg_hi:[0,0,1]
	v_accvgpr_write_b32 a63, v15
	v_pk_fma_f32 v[210:211], v[130:131], s[20:21], v[14:15]
	s_mov_b32 s58, 0x3f06c442
	s_mov_b32 s59, s37
	;; [unrolled: 1-line block ×3, first 2 shown]
	v_accvgpr_write_b32 a62, v14
	v_mov_b32_e32 v13, v211
	v_pk_mul_f32 v[14:15], v[150:151], s[58:59]
	s_mov_b32 s68, s37
	s_mov_b32 s69, s58
	v_pk_add_f32 v[2:3], v[12:13], v[2:3]
	v_pk_fma_f32 v[12:13], v[132:133], s[68:69], v[14:15] neg_lo:[0,0,1] neg_hi:[0,0,1]
	v_accvgpr_write_b32 a65, v15
	v_pk_fma_f32 v[216:217], v[132:133], s[68:69], v[14:15]
	s_mov_b32 s60, 0x3f763a35
	s_mov_b32 s61, s31
	v_accvgpr_write_b32 a64, v14
	v_mov_b32_e32 v13, v217
	v_pk_mul_f32 v[14:15], v[152:153], s[60:61]
	s_mov_b32 s26, s31
	s_mov_b32 s27, s60
	v_pk_add_f32 v[2:3], v[12:13], v[2:3]
	v_pk_fma_f32 v[12:13], v[134:135], s[26:27], v[14:15] neg_lo:[0,0,1] neg_hi:[0,0,1]
	v_accvgpr_write_b32 a67, v15
	v_pk_fma_f32 v[220:221], v[134:135], s[26:27], v[14:15]
	s_mov_b32 s48, 0x3f65296c
	s_mov_b32 s49, s55
	;; [unrolled: 11-line block ×3, first 2 shown]
	v_accvgpr_write_b32 a68, v14
	v_mov_b32_e32 v13, v225
	v_pk_mul_f32 v[14:15], v[156:157], s[50:51]
	s_mov_b32 s46, s29
	s_mov_b32 s47, s50
	v_pk_add_f32 v[2:3], v[12:13], v[2:3]
	v_pk_fma_f32 v[12:13], v[138:139], s[46:47], v[14:15] neg_lo:[0,0,1] neg_hi:[0,0,1]
	v_pk_fma_f32 v[230:231], v[138:139], s[46:47], v[14:15]
	v_accvgpr_write_b32 a71, v15
	v_mov_b32_e32 v13, v231
	v_pk_add_f32 v[74:75], v[12:13], v[2:3]
	v_pk_mul_f32 v[12:13], v[0:1], s[54:55]
	v_accvgpr_write_b32 a70, v14
	v_pk_fma_f32 v[2:3], v[180:181], s[62:63], v[12:13] neg_lo:[0,0,1] neg_hi:[0,0,1]
	v_accvgpr_write_b32 a73, v13
	v_pk_fma_f32 v[228:229], v[180:181], s[62:63], v[12:13]
	v_pk_mul_f32 v[14:15], v[144:145], s[34:35]
	v_accvgpr_write_b32 a72, v12
	v_mov_b32_e32 v3, v229
	v_pk_fma_f32 v[12:13], v[124:125], s[22:23], v[14:15] neg_lo:[0,0,1] neg_hi:[0,0,1]
	v_accvgpr_write_b32 a75, v15
	v_pk_fma_f32 v[234:235], v[124:125], s[22:23], v[14:15]
	s_mov_b32 s44, 0x3e3c28d5
	s_mov_b32 s45, s43
	v_pk_add_f32 v[2:3], v[68:69], v[2:3]
	v_accvgpr_write_b32 a74, v14
	v_mov_b32_e32 v13, v235
	v_pk_mul_f32 v[14:15], v[146:147], s[44:45]
	s_mov_b32 s70, s43
	s_mov_b32 s71, s44
	v_pk_add_f32 v[2:3], v[12:13], v[2:3]
	v_pk_fma_f32 v[12:13], v[128:129], s[70:71], v[14:15] neg_lo:[0,0,1] neg_hi:[0,0,1]
	v_accvgpr_write_b32 a77, v15
	v_pk_fma_f32 v[240:241], v[128:129], s[70:71], v[14:15]
	v_accvgpr_write_b32 a76, v14
	v_mov_b32_e32 v13, v241
	v_pk_mul_f32 v[14:15], v[148:149], s[60:61]
	v_pk_add_f32 v[2:3], v[12:13], v[2:3]
	v_pk_fma_f32 v[12:13], v[130:131], s[26:27], v[14:15] neg_lo:[0,0,1] neg_hi:[0,0,1]
	v_accvgpr_write_b32 a79, v15
	v_pk_fma_f32 v[242:243], v[130:131], s[26:27], v[14:15]
	s_mov_b32 s56, 0x3f2c7751
	s_mov_b32 s57, s39
	v_accvgpr_write_b32 a78, v14
	v_mov_b32_e32 v13, v243
	v_pk_mul_f32 v[14:15], v[150:151], s[56:57]
	s_mov_b32 s44, s39
	s_mov_b32 s45, s56
	v_pk_add_f32 v[2:3], v[12:13], v[2:3]
	v_pk_fma_f32 v[12:13], v[132:133], s[44:45], v[14:15] neg_lo:[0,0,1] neg_hi:[0,0,1]
	v_accvgpr_write_b32 a81, v15
	v_pk_fma_f32 v[248:249], v[132:133], s[44:45], v[14:15]
	v_accvgpr_write_b32 a80, v14
	v_mov_b32_e32 v13, v249
	v_pk_mul_f32 v[14:15], v[152:153], s[28:29]
	v_pk_add_f32 v[2:3], v[12:13], v[2:3]
	v_pk_fma_f32 v[12:13], v[134:135], s[2:3], v[14:15] neg_lo:[0,0,1] neg_hi:[0,0,1]
	v_accvgpr_write_b32 a85, v15
	v_pk_fma_f32 v[254:255], v[134:135], s[2:3], v[14:15]
	v_accvgpr_write_b32 a84, v14
	v_mov_b32_e32 v13, v255
	v_pk_mul_f32 v[14:15], v[154:155], s[40:41]
	v_pk_add_f32 v[2:3], v[12:13], v[2:3]
	v_pk_fma_f32 v[12:13], v[136:137], s[16:17], v[14:15] neg_lo:[0,0,1] neg_hi:[0,0,1]
	v_accvgpr_write_b32 a89, v15
	v_pk_fma_f32 v[142:143], v[136:137], s[16:17], v[14:15]
	s_mov_b32 s18, s37
	s_mov_b32 s19, s36
	v_accvgpr_write_b32 a88, v14
	v_mov_b32_e32 v13, v143
	v_pk_mul_f32 v[14:15], v[156:157], s[36:37]
	v_pk_add_f32 v[2:3], v[12:13], v[2:3]
	v_pk_fma_f32 v[12:13], v[138:139], s[18:19], v[14:15] neg_lo:[0,0,1] neg_hi:[0,0,1]
	v_pk_fma_f32 v[66:67], v[138:139], s[18:19], v[14:15]
	v_accvgpr_write_b32 a93, v15
	v_mov_b32_e32 v13, v67
	v_pk_add_f32 v[72:73], v[12:13], v[2:3]
	v_pk_mul_f32 v[12:13], v[0:1], s[40:41]
	v_accvgpr_write_b32 a92, v14
	v_pk_fma_f32 v[2:3], v[180:181], s[16:17], v[12:13] neg_lo:[0,0,1] neg_hi:[0,0,1]
	v_accvgpr_write_b32 a83, v13
	v_pk_fma_f32 v[250:251], v[180:181], s[16:17], v[12:13]
	v_pk_mul_f32 v[14:15], v[144:145], s[42:43]
	v_accvgpr_write_b32 a82, v12
	v_mov_b32_e32 v3, v251
	v_pk_fma_f32 v[12:13], v[124:125], s[20:21], v[14:15] neg_lo:[0,0,1] neg_hi:[0,0,1]
	v_accvgpr_write_b32 a87, v15
	v_pk_fma_f32 v[108:109], v[124:125], s[20:21], v[14:15]
	v_pk_add_f32 v[2:3], v[68:69], v[2:3]
	v_accvgpr_write_b32 a86, v14
	v_mov_b32_e32 v13, v109
	v_pk_mul_f32 v[14:15], v[146:147], s[60:61]
	v_pk_add_f32 v[2:3], v[12:13], v[2:3]
	v_pk_fma_f32 v[12:13], v[128:129], s[26:27], v[14:15] neg_lo:[0,0,1] neg_hi:[0,0,1]
	v_accvgpr_write_b32 a91, v15
	v_pk_fma_f32 v[120:121], v[128:129], s[26:27], v[14:15]
	v_accvgpr_write_b32 a90, v14
	v_mov_b32_e32 v13, v121
	v_pk_mul_f32 v[14:15], v[148:149], s[50:51]
	v_pk_add_f32 v[2:3], v[12:13], v[2:3]
	v_pk_fma_f32 v[12:13], v[130:131], s[46:47], v[14:15] neg_lo:[0,0,1] neg_hi:[0,0,1]
	v_accvgpr_write_b32 a95, v15
	v_pk_fma_f32 v[184:185], v[130:131], s[46:47], v[14:15]
	;; [unrolled: 7-line block ×4, first 2 shown]
	s_mov_b32 s66, 0x3f4c4adb
	s_mov_b32 s67, s35
	v_accvgpr_write_b32 a98, v14
	v_mov_b32_e32 v13, v63
	v_pk_mul_f32 v[14:15], v[154:155], s[66:67]
	s_mov_b32 s52, s35
	s_mov_b32 s53, s66
	v_pk_add_f32 v[2:3], v[12:13], v[2:3]
	v_pk_fma_f32 v[12:13], v[136:137], s[52:53], v[14:15] neg_lo:[0,0,1] neg_hi:[0,0,1]
	v_pk_fma_f32 v[200:201], v[136:137], s[52:53], v[14:15]
	v_pk_mul_f32 v[194:195], v[156:157], s[56:57]
	v_mov_b32_e32 v13, v201
	s_mov_b32 s14, s31
	s_mov_b32 s15, s30
	v_pk_add_f32 v[2:3], v[12:13], v[2:3]
	v_pk_fma_f32 v[12:13], v[138:139], s[44:45], v[194:195] neg_lo:[0,0,1] neg_hi:[0,0,1]
	v_pk_fma_f32 v[208:209], v[138:139], s[44:45], v[194:195]
	v_pk_mul_f32 v[116:117], v[0:1], s[30:31]
	v_mov_b32_e32 v13, v209
	v_pk_fma_f32 v[0:1], v[180:181], s[14:15], v[116:117] neg_lo:[0,0,1] neg_hi:[0,0,1]
	v_pk_fma_f32 v[204:205], v[180:181], s[14:15], v[116:117]
	v_pk_mul_f32 v[222:223], v[144:145], s[58:59]
	v_pk_add_f32 v[78:79], v[12:13], v[2:3]
	v_mov_b32_e32 v1, v205
	v_pk_fma_f32 v[2:3], v[124:125], s[68:69], v[222:223] neg_lo:[0,0,1] neg_hi:[0,0,1]
	v_pk_fma_f32 v[218:219], v[124:125], s[68:69], v[222:223]
	v_pk_add_f32 v[0:1], v[68:69], v[0:1]
	v_mov_b32_e32 v3, v219
	v_pk_mul_f32 v[232:233], v[146:147], s[56:57]
	v_pk_add_f32 v[0:1], v[2:3], v[0:1]
	v_pk_fma_f32 v[2:3], v[128:129], s[44:45], v[232:233] neg_lo:[0,0,1] neg_hi:[0,0,1]
	v_pk_fma_f32 v[226:227], v[128:129], s[44:45], v[232:233]
	v_accvgpr_write_b32 a101, v15
	v_mov_b32_e32 v3, v227
	v_pk_add_f32 v[2:3], v[2:3], v[0:1]
	v_pk_mul_f32 v[0:1], v[148:149], s[54:55]
	v_pk_mul_f32 v[238:239], v[150:151], s[42:43]
	v_pk_fma_f32 v[12:13], v[130:131], s[62:63], v[0:1] neg_lo:[0,0,1] neg_hi:[0,0,1]
	v_pk_fma_f32 v[236:237], v[130:131], s[62:63], v[0:1]
	v_accvgpr_write_b32 a100, v14
	v_mov_b32_e32 v13, v237
	v_pk_add_f32 v[12:13], v[12:13], v[2:3]
	v_pk_fma_f32 v[14:15], v[132:133], s[20:21], v[238:239] neg_lo:[0,0,1] neg_hi:[0,0,1]
	v_pk_fma_f32 v[2:3], v[132:133], s[20:21], v[238:239]
	s_mov_b32 s64, 0x3f7ee86f
	v_mov_b32_e32 v15, v3
	s_mov_b32 s65, s41
	v_pk_add_f32 v[16:17], v[14:15], v[12:13]
	v_pk_mul_f32 v[12:13], v[152:153], s[64:65]
	s_mov_b32 s54, s41
	s_mov_b32 s55, s64
	v_pk_fma_f32 v[18:19], v[134:135], s[54:55], v[12:13] neg_lo:[0,0,1] neg_hi:[0,0,1]
	v_pk_fma_f32 v[14:15], v[134:135], s[54:55], v[12:13]
	v_pk_mul_f32 v[118:119], v[150:151], s[30:31]
	v_mov_b32_e32 v19, v15
	v_pk_add_f32 v[20:21], v[18:19], v[16:17]
	v_pk_mul_f32 v[18:19], v[154:155], s[28:29]
	v_pk_fma_f32 v[112:113], v[132:133], s[14:15], v[118:119]
	v_pk_fma_f32 v[22:23], v[136:137], s[2:3], v[18:19] neg_lo:[0,0,1] neg_hi:[0,0,1]
	v_pk_fma_f32 v[16:17], v[136:137], s[2:3], v[18:19]
	v_pk_mul_f32 v[252:253], v[152:153], s[34:35]
	v_mov_b32_e32 v23, v17
	v_pk_add_f32 v[64:65], v[22:23], v[20:21]
	v_pk_mul_f32 v[22:23], v[156:157], s[34:35]
	v_pk_fma_f32 v[114:115], v[134:135], s[22:23], v[252:253] neg_lo:[0,0,1] neg_hi:[0,0,1]
	v_pk_fma_f32 v[76:77], v[138:139], s[22:23], v[22:23] neg_lo:[0,0,1] neg_hi:[0,0,1]
	v_pk_fma_f32 v[20:21], v[138:139], s[22:23], v[22:23]
	v_pk_fma_f32 v[122:123], v[134:135], s[22:23], v[252:253]
	v_mov_b32_e32 v77, v21
	v_pk_add_f32 v[76:77], v[76:77], v[64:65]
	v_pk_fma_f32 v[64:65], v[132:133], s[14:15], v[118:119] neg_lo:[0,0,1] neg_hi:[0,0,1]
	v_mov_b32_e32 v115, v123
	v_mov_b32_e32 v65, v113
	v_pk_add_f32 v[64:65], v[64:65], v[158:159]
	v_pk_mul_f32 v[246:247], v[154:155], s[36:37]
	v_pk_add_f32 v[64:65], v[114:115], v[64:65]
	v_pk_fma_f32 v[114:115], v[136:137], s[18:19], v[246:247] neg_lo:[0,0,1] neg_hi:[0,0,1]
	v_pk_fma_f32 v[244:245], v[136:137], s[18:19], v[246:247]
	v_mov_b32_e32 v170, v160
	v_mov_b32_e32 v115, v245
	v_pk_add_f32 v[188:189], v[114:115], v[64:65]
	v_pk_mul_f32 v[64:65], v[156:157], s[42:43]
	v_mov_b32_e32 v171, v160
	v_pk_fma_f32 v[114:115], v[138:139], s[20:21], v[64:65] neg_lo:[0,0,1] neg_hi:[0,0,1]
	v_pk_fma_f32 v[60:61], v[138:139], s[20:21], v[64:65]
	v_mov_b32_e32 v160, v161
	v_mov_b32_e32 v115, v61
	v_accvgpr_read_b32 v215, a37
	v_pk_add_f32 v[212:213], v[114:115], v[188:189]
	v_accvgpr_write_b32 a10, v160
	v_accvgpr_read_b32 v214, a36
	v_accvgpr_write_b32 a36, v212
	v_mov_b32_e32 v178, v26
	v_mov_b32_e32 v179, v26
	;; [unrolled: 1-line block ×12, first 2 shown]
	v_accvgpr_write_b32 a11, v161
	v_mov_b32_e32 v168, v36
	v_mov_b32_e32 v169, v36
	;; [unrolled: 1-line block ×18, first 2 shown]
	v_accvgpr_write_b32 a37, v213
	v_accvgpr_write_b32 a38, v214
	;; [unrolled: 1-line block ×3, first 2 shown]
	s_barrier
	s_and_saveexec_b64 s[58:59], vcc
	s_cbranch_execz .LBB0_17
; %bb.16:
	v_pk_add_f32 v[70:71], v[70:71], v[68:69]
	v_accvgpr_read_b32 v213, a53
	v_pk_add_f32 v[70:71], v[84:85], v[70:71]
	v_pk_mul_f32 v[84:85], v[124:125], s[10:11]
	v_accvgpr_read_b32 v212, a52
	v_pk_add_f32 v[84:85], v[212:213], v[84:85] neg_lo:[0,1] neg_hi:[0,1]
	v_pk_mul_f32 v[212:213], v[128:129], s[70:71]
	v_pk_add_f32 v[70:71], v[86:87], v[70:71]
	v_accvgpr_write_b32 a52, v212
	v_pk_add_f32 v[70:71], v[92:93], v[70:71]
	v_accvgpr_write_b32 a53, v213
	v_accvgpr_read_b32 v213, a51
	v_pk_mul_f32 v[86:87], v[128:129], s[62:63]
	v_pk_add_f32 v[70:71], v[94:95], v[70:71]
	v_accvgpr_read_b32 v189, a49
	v_accvgpr_read_b32 v212, a50
	v_pk_mul_f32 v[114:115], v[180:181], s[2:3]
	v_pk_add_f32 v[70:71], v[88:89], v[70:71]
	v_accvgpr_read_b32 v188, a48
	v_pk_add_f32 v[86:87], v[212:213], v[86:87] neg_lo:[0,1] neg_hi:[0,1]
	v_pk_mul_f32 v[212:213], v[134:135], s[2:3]
	v_pk_add_f32 v[70:71], v[90:91], v[70:71]
	v_pk_add_f32 v[114:115], v[188:189], v[114:115] neg_lo:[0,1] neg_hi:[0,1]
	v_accvgpr_write_b32 a48, v212
	v_pk_add_f32 v[70:71], v[96:97], v[70:71]
	v_mov_b32_e32 v183, v115
	v_accvgpr_write_b32 a49, v213
	v_accvgpr_read_b32 v213, a55
	v_pk_mul_f32 v[92:93], v[130:131], s[16:17]
	v_pk_add_f32 v[70:71], v[98:99], v[70:71]
	v_mov_b32_e32 v187, v85
	v_pk_add_f32 v[182:183], v[68:69], v[182:183]
	v_accvgpr_read_b32 v212, a54
	v_pk_mul_f32 v[94:95], v[132:133], s[14:15]
	v_pk_add_f32 v[70:71], v[100:101], v[70:71]
	v_pk_add_f32 v[182:183], v[186:187], v[182:183]
	v_mov_b32_e32 v193, v87
	v_pk_add_f32 v[92:93], v[212:213], v[92:93] neg_lo:[0,1] neg_hi:[0,1]
	v_pk_mul_f32 v[88:89], v[134:135], s[22:23]
	v_pk_add_f32 v[70:71], v[102:103], v[70:71]
	v_pk_add_f32 v[182:183], v[192:193], v[182:183]
	v_mov_b32_e32 v197, v93
	v_pk_add_f32 v[94:95], v[118:119], v[94:95] neg_lo:[0,1] neg_hi:[0,1]
	v_pk_mul_f32 v[90:91], v[136:137], s[18:19]
	v_pk_add_f32 v[70:71], v[80:81], v[70:71]
	v_pk_add_f32 v[182:183], v[196:197], v[182:183]
	v_mov_b32_e32 v113, v95
	v_pk_add_f32 v[88:89], v[252:253], v[88:89] neg_lo:[0,1] neg_hi:[0,1]
	v_pk_mul_f32 v[96:97], v[138:139], s[20:21]
	v_pk_add_f32 v[70:71], v[82:83], v[70:71]
	v_pk_add_f32 v[112:113], v[112:113], v[182:183]
	v_mov_b32_e32 v123, v89
	v_pk_add_f32 v[90:91], v[246:247], v[90:91] neg_lo:[0,1] neg_hi:[0,1]
	v_pk_add_f32 v[70:71], v[104:105], v[70:71]
	v_pk_add_f32 v[112:113], v[122:123], v[112:113]
	v_mov_b32_e32 v245, v91
	v_pk_add_f32 v[64:65], v[64:65], v[96:97] neg_lo:[0,1] neg_hi:[0,1]
	v_pk_add_f32 v[70:71], v[106:107], v[70:71]
	v_pk_add_f32 v[112:113], v[244:245], v[112:113]
	v_mov_b32_e32 v61, v65
	v_accvgpr_read_b32 v3, a27
	v_pk_add_f32 v[70:71], v[126:127], v[70:71]
	v_pk_add_f32 v[60:61], v[60:61], v[112:113]
	v_lshlrev_b32_e32 v111, 3, v3
	ds_write2_b64 v111, v[70:71], v[60:61] offset1:1
	v_accvgpr_read_b32 v71, a57
	v_pk_mul_f32 v[98:99], v[180:181], s[10:11]
	v_accvgpr_read_b32 v70, a56
	v_pk_add_f32 v[70:71], v[70:71], v[98:99] neg_lo:[0,1] neg_hi:[0,1]
	v_accvgpr_read_b32 v99, a59
	v_pk_mul_f32 v[100:101], v[124:125], s[16:17]
	v_accvgpr_read_b32 v98, a58
	v_pk_add_f32 v[98:99], v[98:99], v[100:101] neg_lo:[0,1] neg_hi:[0,1]
	v_pk_mul_f32 v[102:103], v[128:129], s[22:23]
	v_mov_b32_e32 v203, v99
	v_accvgpr_read_b32 v99, a61
	v_accvgpr_read_b32 v98, a60
	v_pk_add_f32 v[98:99], v[98:99], v[102:103] neg_lo:[0,1] neg_hi:[0,1]
	v_pk_mul_f32 v[80:81], v[130:131], s[20:21]
	v_mov_b32_e32 v207, v99
	v_accvgpr_read_b32 v99, a63
	;; [unrolled: 5-line block ×3, first 2 shown]
	v_accvgpr_read_b32 v80, a64
	v_pk_add_f32 v[80:81], v[80:81], v[82:83] neg_lo:[0,1] neg_hi:[0,1]
	v_accvgpr_read_b32 v83, a75
	v_pk_mul_f32 v[114:115], v[124:125], s[22:23]
	v_accvgpr_read_b32 v82, a74
	v_mov_b32_e32 v217, v81
	v_accvgpr_read_b32 v81, a67
	v_pk_add_f32 v[82:83], v[82:83], v[114:115] neg_lo:[0,1] neg_hi:[0,1]
	v_pk_mul_f32 v[104:105], v[134:135], s[26:27]
	v_accvgpr_read_b32 v80, a66
	v_mov_b32_e32 v235, v83
	v_accvgpr_read_b32 v83, a77
	v_accvgpr_read_b32 v99, a53
	v_pk_add_f32 v[80:81], v[80:81], v[104:105] neg_lo:[0,1] neg_hi:[0,1]
	v_accvgpr_read_b32 v82, a76
	v_accvgpr_read_b32 v98, a52
	v_mov_b32_e32 v221, v81
	v_accvgpr_read_b32 v81, a69
	v_pk_add_f32 v[82:83], v[82:83], v[98:99] neg_lo:[0,1] neg_hi:[0,1]
	v_pk_mul_f32 v[106:107], v[136:137], s[24:25]
	v_accvgpr_read_b32 v80, a68
	v_mov_b32_e32 v241, v83
	v_accvgpr_read_b32 v83, a79
	v_pk_mul_f32 v[84:85], v[130:131], s[26:27]
	v_pk_add_f32 v[80:81], v[80:81], v[106:107] neg_lo:[0,1] neg_hi:[0,1]
	v_accvgpr_read_b32 v82, a78
	v_mov_b32_e32 v225, v81
	v_accvgpr_read_b32 v81, a71
	v_pk_add_f32 v[82:83], v[82:83], v[84:85] neg_lo:[0,1] neg_hi:[0,1]
	v_pk_mul_f32 v[126:127], v[138:139], s[46:47]
	v_accvgpr_read_b32 v80, a70
	v_mov_b32_e32 v243, v83
	v_accvgpr_read_b32 v83, a81
	v_pk_mul_f32 v[186:187], v[132:133], s[44:45]
	v_pk_add_f32 v[80:81], v[80:81], v[126:127] neg_lo:[0,1] neg_hi:[0,1]
	v_accvgpr_read_b32 v82, a80
	v_mov_b32_e32 v231, v81
	v_accvgpr_read_b32 v81, a73
	v_pk_add_f32 v[82:83], v[82:83], v[186:187] neg_lo:[0,1] neg_hi:[0,1]
	v_pk_mul_f32 v[188:189], v[180:181], s[62:63]
	v_accvgpr_read_b32 v80, a72
	v_mov_b32_e32 v249, v83
	v_accvgpr_read_b32 v82, a84
	v_accvgpr_read_b32 v85, a49
	v_pk_add_f32 v[80:81], v[80:81], v[188:189] neg_lo:[0,1] neg_hi:[0,1]
	v_accvgpr_read_b32 v83, a85
	v_accvgpr_read_b32 v84, a48
	v_mov_b32_e32 v199, v71
	v_mov_b32_e32 v229, v81
	v_pk_add_f32 v[82:83], v[82:83], v[84:85] neg_lo:[0,1] neg_hi:[0,1]
	v_pk_add_f32 v[70:71], v[68:69], v[198:199]
	v_pk_add_f32 v[80:81], v[68:69], v[228:229]
	v_mov_b32_e32 v255, v83
	v_accvgpr_read_b32 v82, a88
	v_pk_mul_f32 v[86:87], v[136:137], s[16:17]
	v_pk_add_f32 v[70:71], v[202:203], v[70:71]
	v_pk_add_f32 v[80:81], v[234:235], v[80:81]
	v_accvgpr_read_b32 v83, a89
	v_pk_add_f32 v[70:71], v[206:207], v[70:71]
	v_pk_add_f32 v[80:81], v[240:241], v[80:81]
	v_pk_add_f32 v[82:83], v[82:83], v[86:87] neg_lo:[0,1] neg_hi:[0,1]
	v_pk_add_f32 v[70:71], v[210:211], v[70:71]
	v_pk_add_f32 v[80:81], v[242:243], v[80:81]
	v_mov_b32_e32 v143, v83
	v_accvgpr_read_b32 v82, a92
	v_pk_mul_f32 v[192:193], v[138:139], s[18:19]
	v_pk_add_f32 v[70:71], v[216:217], v[70:71]
	v_pk_add_f32 v[80:81], v[248:249], v[80:81]
	v_accvgpr_read_b32 v83, a93
	v_pk_add_f32 v[70:71], v[220:221], v[70:71]
	v_pk_add_f32 v[80:81], v[254:255], v[80:81]
	v_pk_add_f32 v[82:83], v[82:83], v[192:193] neg_lo:[0,1] neg_hi:[0,1]
	v_pk_add_f32 v[70:71], v[224:225], v[70:71]
	v_pk_add_f32 v[80:81], v[142:143], v[80:81]
	v_mov_b32_e32 v67, v83
	v_pk_add_f32 v[70:71], v[230:231], v[70:71]
	v_pk_add_f32 v[66:67], v[66:67], v[80:81]
	ds_write2_b64 v111, v[70:71], v[66:67] offset0:2 offset1:3
	v_accvgpr_read_b32 v70, a86
	v_pk_mul_f32 v[92:93], v[124:125], s[20:21]
	v_accvgpr_read_b32 v71, a87
	v_pk_add_f32 v[70:71], v[70:71], v[92:93] neg_lo:[0,1] neg_hi:[0,1]
	v_pk_mul_f32 v[196:197], v[128:129], s[26:27]
	v_mov_b32_e32 v109, v71
	v_accvgpr_read_b32 v70, a90
	v_accvgpr_read_b32 v71, a91
	v_pk_add_f32 v[70:71], v[70:71], v[196:197] neg_lo:[0,1] neg_hi:[0,1]
	v_pk_mul_f32 v[118:119], v[130:131], s[46:47]
	v_mov_b32_e32 v121, v71
	v_accvgpr_read_b32 v70, a94
	v_accvgpr_read_b32 v66, a82
	;; [unrolled: 1-line block ×3, first 2 shown]
	v_pk_mul_f32 v[214:215], v[180:181], s[16:17]
	v_accvgpr_read_b32 v67, a83
	v_pk_add_f32 v[70:71], v[70:71], v[118:119] neg_lo:[0,1] neg_hi:[0,1]
	v_pk_add_f32 v[66:67], v[66:67], v[214:215] neg_lo:[0,1] neg_hi:[0,1]
	v_mov_b32_e32 v185, v71
	v_accvgpr_read_b32 v70, a96
	v_pk_mul_f32 v[94:95], v[132:133], s[62:63]
	v_mov_b32_e32 v251, v67
	v_accvgpr_read_b32 v71, a97
	v_pk_add_f32 v[66:67], v[68:69], v[250:251]
	v_pk_add_f32 v[70:71], v[70:71], v[94:95] neg_lo:[0,1] neg_hi:[0,1]
	v_pk_add_f32 v[66:67], v[108:109], v[66:67]
	v_mov_b32_e32 v191, v71
	v_accvgpr_read_b32 v70, a98
	v_pk_mul_f32 v[182:183], v[134:135], s[18:19]
	v_pk_add_f32 v[66:67], v[120:121], v[66:67]
	v_accvgpr_read_b32 v71, a99
	v_pk_add_f32 v[66:67], v[184:185], v[66:67]
	v_pk_add_f32 v[70:71], v[70:71], v[182:183] neg_lo:[0,1] neg_hi:[0,1]
	v_pk_add_f32 v[66:67], v[190:191], v[66:67]
	v_mov_b32_e32 v63, v71
	v_pk_add_f32 v[62:63], v[62:63], v[66:67]
	v_accvgpr_read_b32 v66, a100
	v_pk_mul_f32 v[252:253], v[136:137], s[52:53]
	v_accvgpr_read_b32 v67, a101
	v_pk_mul_f32 v[88:89], v[138:139], s[44:45]
	v_pk_add_f32 v[66:67], v[66:67], v[252:253] neg_lo:[0,1] neg_hi:[0,1]
	v_pk_mul_f32 v[180:181], v[180:181], s[14:15]
	v_mov_b32_e32 v201, v67
	v_pk_add_f32 v[66:67], v[194:195], v[88:89] neg_lo:[0,1] neg_hi:[0,1]
	v_pk_mul_f32 v[122:123], v[124:125], s[68:69]
	v_mov_b32_e32 v209, v67
	;; [unrolled: 3-line block ×3, first 2 shown]
	v_pk_add_f32 v[70:71], v[222:223], v[122:123] neg_lo:[0,1] neg_hi:[0,1]
	v_pk_mul_f32 v[90:91], v[130:131], s[62:63]
	v_pk_add_f32 v[66:67], v[68:69], v[204:205]
	v_mov_b32_e32 v219, v71
	v_pk_add_f32 v[70:71], v[232:233], v[246:247] neg_lo:[0,1] neg_hi:[0,1]
	v_pk_add_f32 v[66:67], v[218:219], v[66:67]
	v_mov_b32_e32 v227, v71
	v_pk_add_f32 v[0:1], v[0:1], v[90:91] neg_lo:[0,1] neg_hi:[0,1]
	v_pk_mul_f32 v[244:245], v[132:133], s[20:21]
	v_pk_add_f32 v[66:67], v[226:227], v[66:67]
	v_mov_b32_e32 v237, v1
	v_pk_add_f32 v[0:1], v[236:237], v[66:67]
	v_pk_add_f32 v[66:67], v[238:239], v[244:245] neg_lo:[0,1] neg_hi:[0,1]
	v_pk_mul_f32 v[96:97], v[134:135], s[54:55]
	v_mov_b32_e32 v3, v67
	v_pk_mul_f32 v[64:65], v[136:137], s[2:3]
	v_pk_add_f32 v[0:1], v[2:3], v[0:1]
	v_pk_add_f32 v[2:3], v[12:13], v[96:97] neg_lo:[0,1] neg_hi:[0,1]
	v_pk_mul_f32 v[112:113], v[138:139], s[22:23]
	v_mov_b32_e32 v15, v3
	v_pk_add_f32 v[2:3], v[18:19], v[64:65] neg_lo:[0,1] neg_hi:[0,1]
	v_accvgpr_read_b32 v213, a47
	v_pk_add_f32 v[0:1], v[14:15], v[0:1]
	v_mov_b32_e32 v17, v3
	v_pk_add_f32 v[2:3], v[22:23], v[112:113] neg_lo:[0,1] neg_hi:[0,1]
	v_accvgpr_read_b32 v212, a46
	v_pk_add_f32 v[62:63], v[200:201], v[62:63]
	v_pk_add_f32 v[0:1], v[16:17], v[0:1]
	v_mov_b32_e32 v21, v3
	v_accvgpr_read_b32 v181, a45
	s_mov_b32 s62, s35
	v_pk_mul_f32 v[60:61], v[212:213], s[34:35] op_sel_hi:[1,0]
	v_pk_add_f32 v[62:63], v[208:209], v[62:63]
	v_pk_add_f32 v[0:1], v[20:21], v[0:1]
	v_accvgpr_read_b32 v180, a44
	ds_write2_b64 v111, v[62:63], v[0:1] offset0:4 offset1:5
	v_pk_fma_f32 v[0:1], v[180:181], s[62:63], v[60:61] op_sel:[0,0,1] op_sel_hi:[1,0,0]
	v_pk_fma_f32 v[2:3], v[180:181], s[62:63], v[60:61] op_sel:[0,0,1] op_sel_hi:[1,0,0] neg_lo:[0,0,1] neg_hi:[0,0,1]
	v_pk_mul_f32 v[14:15], v[144:145], s[60:61]
	v_mov_b32_e32 v12, v0
	v_mov_b32_e32 v13, v3
	v_pk_fma_f32 v[16:17], v[124:125], s[26:27], v[14:15]
	v_pk_fma_f32 v[18:19], v[124:125], s[26:27], v[14:15] neg_lo:[1,0,0] neg_hi:[1,0,0]
	v_pk_add_f32 v[12:13], v[68:69], v[12:13]
	v_mov_b32_e32 v18, v16
	v_pk_add_f32 v[12:13], v[18:19], v[12:13]
	v_pk_mul_f32 v[18:19], v[146:147], s[28:29]
	v_pk_mul_f32 v[90:91], v[144:145], s[48:49]
	v_pk_fma_f32 v[20:21], v[128:129], s[2:3], v[18:19]
	v_pk_fma_f32 v[22:23], v[128:129], s[2:3], v[18:19] neg_lo:[1,0,0] neg_hi:[1,0,0]
	v_pk_fma_f32 v[108:109], v[124:125], s[24:25], v[90:91]
	v_mov_b32_e32 v22, v20
	v_pk_add_f32 v[12:13], v[22:23], v[12:13]
	v_pk_mul_f32 v[22:23], v[148:149], s[36:37]
	v_pk_fma_f32 v[112:113], v[124:125], s[24:25], v[90:91] neg_lo:[1,0,0] neg_hi:[1,0,0]
	v_pk_fma_f32 v[60:61], v[130:131], s[18:19], v[22:23]
	v_pk_fma_f32 v[62:63], v[130:131], s[18:19], v[22:23] neg_lo:[1,0,0] neg_hi:[1,0,0]
	v_pk_mul_f32 v[92:93], v[146:147], s[40:41]
	v_mov_b32_e32 v62, v60
	v_pk_add_f32 v[12:13], v[62:63], v[12:13]
	v_pk_mul_f32 v[62:63], v[150:151], s[64:65]
	v_mov_b32_e32 v112, v108
	v_pk_fma_f32 v[64:65], v[132:133], s[54:55], v[62:63]
	v_pk_fma_f32 v[66:67], v[132:133], s[54:55], v[62:63] neg_lo:[1,0,0] neg_hi:[1,0,0]
	v_pk_fma_f32 v[114:115], v[128:129], s[16:17], v[92:93] neg_lo:[1,0,0] neg_hi:[1,0,0]
	v_mov_b32_e32 v66, v64
	v_pk_add_f32 v[12:13], v[66:67], v[12:13]
	v_pk_mul_f32 v[66:67], v[152:153], s[38:39]
	s_mov_b32 s38, s37
	v_pk_fma_f32 v[70:71], v[134:135], s[10:11], v[66:67]
	v_pk_fma_f32 v[80:81], v[134:135], s[10:11], v[66:67] neg_lo:[1,0,0] neg_hi:[1,0,0]
	v_pk_mul_f32 v[94:95], v[148:149], s[66:67]
	v_mov_b32_e32 v80, v70
	v_pk_add_f32 v[12:13], v[80:81], v[12:13]
	v_pk_mul_f32 v[80:81], v[154:155], s[42:43]
	v_pk_fma_f32 v[116:117], v[130:131], s[52:53], v[94:95] neg_lo:[1,0,0] neg_hi:[1,0,0]
	v_pk_fma_f32 v[82:83], v[136:137], s[20:21], v[80:81]
	v_pk_fma_f32 v[84:85], v[136:137], s[20:21], v[80:81] neg_lo:[1,0,0] neg_hi:[1,0,0]
	v_pk_mul_f32 v[96:97], v[150:151], s[28:29]
	v_mov_b32_e32 v84, v82
	v_pk_add_f32 v[12:13], v[84:85], v[12:13]
	v_pk_mul_f32 v[84:85], v[156:157], s[48:49]
	v_pk_fma_f32 v[118:119], v[132:133], s[2:3], v[96:97] neg_lo:[1,0,0] neg_hi:[1,0,0]
	v_pk_fma_f32 v[86:87], v[138:139], s[24:25], v[84:85]
	v_pk_fma_f32 v[88:89], v[138:139], s[24:25], v[84:85] neg_lo:[1,0,0] neg_hi:[1,0,0]
	v_pk_mul_f32 v[98:99], v[152:153], s[42:43]
	v_mov_b32_e32 v88, v86
	v_pk_add_f32 v[12:13], v[88:89], v[12:13]
	v_pk_mul_f32 v[88:89], v[212:213], s[36:37] op_sel_hi:[1,0]
	v_pk_fma_f32 v[120:121], v[134:135], s[20:21], v[98:99] neg_lo:[1,0,0] neg_hi:[1,0,0]
	v_pk_fma_f32 v[104:105], v[180:181], s[38:39], v[88:89] op_sel:[0,0,1] op_sel_hi:[1,0,0]
	v_pk_fma_f32 v[88:89], v[180:181], s[38:39], v[88:89] op_sel:[0,0,1] op_sel_hi:[1,0,0] neg_lo:[0,0,1] neg_hi:[0,0,1]
	v_mov_b32_e32 v106, v104
	v_mov_b32_e32 v107, v89
	v_pk_add_f32 v[106:107], v[68:69], v[106:107]
	v_pk_mul_f32 v[100:101], v[154:155], s[56:57]
	v_pk_add_f32 v[106:107], v[112:113], v[106:107]
	v_pk_fma_f32 v[112:113], v[128:129], s[16:17], v[92:93]
	v_pk_fma_f32 v[122:123], v[136:137], s[44:45], v[100:101] neg_lo:[1,0,0] neg_hi:[1,0,0]
	v_mov_b32_e32 v114, v112
	v_pk_add_f32 v[106:107], v[114:115], v[106:107]
	v_pk_fma_f32 v[114:115], v[130:131], s[52:53], v[94:95]
	v_pk_mul_f32 v[102:103], v[156:157], s[30:31]
	v_mov_b32_e32 v116, v114
	v_pk_add_f32 v[106:107], v[116:117], v[106:107]
	v_pk_fma_f32 v[116:117], v[132:133], s[2:3], v[96:97]
	v_pk_fma_f32 v[126:127], v[138:139], s[14:15], v[102:103] neg_lo:[1,0,0] neg_hi:[1,0,0]
	v_mov_b32_e32 v118, v116
	v_pk_add_f32 v[106:107], v[118:119], v[106:107]
	v_pk_fma_f32 v[118:119], v[134:135], s[20:21], v[98:99]
	s_mov_b32 s28, s43
	v_mov_b32_e32 v120, v118
	v_pk_add_f32 v[106:107], v[120:121], v[106:107]
	v_pk_fma_f32 v[120:121], v[136:137], s[44:45], v[100:101]
	v_pk_mul_f32 v[142:143], v[148:149], s[56:57]
	v_mov_b32_e32 v122, v120
	v_pk_add_f32 v[106:107], v[122:123], v[106:107]
	v_pk_fma_f32 v[122:123], v[138:139], s[14:15], v[102:103]
	v_pk_mul_f32 v[148:149], v[154:155], s[30:31]
	v_mov_b32_e32 v126, v122
	v_pk_add_f32 v[106:107], v[126:127], v[106:107]
	ds_write2_b64 v111, v[12:13], v[106:107] offset0:6 offset1:7
	v_pk_mul_f32 v[12:13], v[212:213], s[42:43] op_sel_hi:[1,0]
	v_pk_mul_f32 v[106:107], v[144:145], s[50:51]
	v_pk_mul_f32 v[126:127], v[146:147], s[36:37]
	;; [unrolled: 1-line block ×3, first 2 shown]
	v_pk_fma_f32 v[152:153], v[180:181], s[28:29], v[12:13] op_sel:[0,0,1] op_sel_hi:[1,0,0]
	v_pk_fma_f32 v[12:13], v[180:181], s[28:29], v[12:13] op_sel:[0,0,1] op_sel_hi:[1,0,0] neg_lo:[0,0,1] neg_hi:[0,0,1]
	v_pk_mul_f32 v[144:145], v[150:151], s[34:35]
	v_pk_mul_f32 v[150:151], v[156:157], s[64:65]
	v_mov_b32_e32 v154, v152
	v_mov_b32_e32 v155, v13
	v_pk_fma_f32 v[156:157], v[124:125], s[46:47], v[106:107]
	v_pk_fma_f32 v[180:181], v[124:125], s[46:47], v[106:107] neg_lo:[1,0,0] neg_hi:[1,0,0]
	v_mov_b32_e32 v13, v153
	v_pk_fma_f32 v[106:107], v[124:125], s[46:47], v[106:107] neg_lo:[0,0,1] neg_hi:[0,0,1]
	v_pk_add_f32 v[154:155], v[68:69], v[154:155]
	v_mov_b32_e32 v180, v156
	v_pk_add_f32 v[12:13], v[68:69], v[12:13]
	v_mov_b32_e32 v107, v157
	v_pk_add_f32 v[154:155], v[180:181], v[154:155]
	v_pk_fma_f32 v[180:181], v[128:129], s[18:19], v[126:127]
	v_pk_fma_f32 v[182:183], v[128:129], s[18:19], v[126:127] neg_lo:[1,0,0] neg_hi:[1,0,0]
	v_pk_add_f32 v[12:13], v[106:107], v[12:13]
	v_pk_fma_f32 v[106:107], v[128:129], s[18:19], v[126:127] neg_lo:[0,0,1] neg_hi:[0,0,1]
	v_mov_b32_e32 v182, v180
	v_mov_b32_e32 v107, v181
	v_pk_add_f32 v[154:155], v[182:183], v[154:155]
	v_pk_fma_f32 v[182:183], v[130:131], s[44:45], v[142:143]
	v_pk_fma_f32 v[184:185], v[130:131], s[44:45], v[142:143] neg_lo:[1,0,0] neg_hi:[1,0,0]
	v_pk_add_f32 v[12:13], v[106:107], v[12:13]
	v_pk_fma_f32 v[106:107], v[130:131], s[44:45], v[142:143] neg_lo:[0,0,1] neg_hi:[0,0,1]
	v_mov_b32_e32 v184, v182
	;; [unrolled: 7-line block ×6, first 2 shown]
	v_mov_b32_e32 v107, v191
	v_pk_add_f32 v[154:155], v[192:193], v[154:155]
	v_pk_add_f32 v[12:13], v[106:107], v[12:13]
	v_mov_b32_e32 v89, v105
	v_mov_b32_e32 v3, v1
	ds_write2_b64 v111, v[154:155], v[12:13] offset0:8 offset1:9
	v_pk_add_f32 v[12:13], v[68:69], v[88:89]
	v_pk_fma_f32 v[88:89], v[124:125], s[24:25], v[90:91] neg_lo:[0,0,1] neg_hi:[0,0,1]
	v_pk_add_f32 v[0:1], v[68:69], v[2:3]
	v_pk_fma_f32 v[2:3], v[124:125], s[26:27], v[14:15] neg_lo:[0,0,1] neg_hi:[0,0,1]
	v_mov_b32_e32 v89, v109
	v_mov_b32_e32 v3, v17
	v_pk_add_f32 v[12:13], v[88:89], v[12:13]
	v_pk_fma_f32 v[88:89], v[128:129], s[16:17], v[92:93] neg_lo:[0,0,1] neg_hi:[0,0,1]
	v_pk_add_f32 v[0:1], v[2:3], v[0:1]
	v_pk_fma_f32 v[2:3], v[128:129], s[2:3], v[18:19] neg_lo:[0,0,1] neg_hi:[0,0,1]
	v_mov_b32_e32 v89, v113
	v_mov_b32_e32 v3, v21
	;; [unrolled: 6-line block ×7, first 2 shown]
	v_pk_add_f32 v[12:13], v[88:89], v[12:13]
	v_pk_add_f32 v[0:1], v[2:3], v[0:1]
	ds_write2_b64 v111, v[12:13], v[0:1] offset0:10 offset1:11
	ds_write2_b64 v111, v[76:77], v[78:79] offset0:12 offset1:13
	;; [unrolled: 1-line block ×3, first 2 shown]
	v_accvgpr_read_b32 v0, a36
	v_accvgpr_read_b32 v1, a37
	;; [unrolled: 1-line block ×4, first 2 shown]
	ds_write_b64 v111, v[0:1] offset:128
.LBB0_17:
	s_or_b64 exec, exec, s[58:59]
	v_add_u32_e32 v94, 0x1400, v140
	s_waitcnt lgkmcnt(0)
	s_barrier
	ds_read2_b64 v[60:63], v94 offset0:40 offset1:210
	v_add_u32_e32 v97, 0x2800, v140
	ds_read2_b64 v[84:87], v97 offset0:80 offset1:250
	v_add_u32_e32 v95, 0x3400, v140
	ds_read2_b64 v[66:69], v95 offset0:36 offset1:206
	s_waitcnt lgkmcnt(2)
	v_mov_b32_e32 v22, v63
	v_pk_mul_f32 v[64:65], v[24:25], v[62:63] op_sel_hi:[1,0]
	v_add_u32_e32 v96, 0x800, v140
	v_pk_fma_f32 v[88:89], v[24:25], v[22:23], v[64:65] op_sel:[0,0,1] op_sel_hi:[1,1,0] neg_lo:[0,0,1] neg_hi:[0,0,1]
	v_pk_fma_f32 v[22:23], v[24:25], v[62:63], v[64:65] op_sel:[0,1,1] op_sel_hi:[1,1,0]
	v_accvgpr_read_b32 v63, a29
	v_mov_b32_e32 v89, v23
	s_waitcnt lgkmcnt(1)
	v_pk_mul_f32 v[22:23], v[26:27], v[84:85]
	v_accvgpr_read_b32 v62, a28
	v_pk_fma_f32 v[24:25], v[178:179], v[84:85], v[22:23] op_sel:[0,0,1] op_sel_hi:[1,1,0]
	v_pk_fma_f32 v[22:23], v[178:179], v[84:85], v[22:23] op_sel:[0,0,1] op_sel_hi:[1,1,0] neg_lo:[0,0,1] neg_hi:[0,0,1]
	ds_read2_b64 v[80:83], v96 offset0:84 offset1:254
	s_waitcnt lgkmcnt(1)
	v_mov_b32_e32 v22, v69
	v_pk_mul_f32 v[26:27], v[62:63], v[68:69] op_sel_hi:[1,0]
	v_add_u32_e32 v64, 0x1e00, v140
	v_mov_b32_e32 v25, v23
	v_pk_fma_f32 v[22:23], v[62:63], v[22:23], v[26:27] op_sel:[0,0,1] op_sel_hi:[1,1,0] neg_lo:[0,0,1] neg_hi:[0,0,1]
	v_pk_fma_f32 v[26:27], v[62:63], v[68:69], v[26:27] op_sel:[0,1,1] op_sel_hi:[1,1,0]
	ds_read2_b64 v[68:71], v64 offset0:60 offset1:230
	v_mov_b32_e32 v23, v27
	v_mov_b32_e32 v90, v61
	v_pk_mul_f32 v[92:93], v[4:5], v[60:61] op_sel_hi:[1,0]
	s_waitcnt lgkmcnt(1)
	v_pk_add_f32 v[26:27], v[80:81], v[24:25] neg_lo:[0,1] neg_hi:[0,1]
	v_pk_add_f32 v[62:63], v[88:89], v[22:23] neg_lo:[0,1] neg_hi:[0,1]
	v_pk_fma_f32 v[90:91], v[4:5], v[90:91], v[92:93] op_sel:[0,0,1] op_sel_hi:[1,1,0] neg_lo:[0,0,1] neg_hi:[0,0,1]
	v_pk_fma_f32 v[4:5], v[4:5], v[60:61], v[92:93] op_sel:[0,1,1] op_sel_hi:[1,1,0]
	v_pk_add_f32 v[84:85], v[26:27], v[62:63]
	v_pk_add_f32 v[22:23], v[26:27], v[62:63] neg_lo:[0,1] neg_hi:[0,1]
	v_mov_b32_e32 v91, v5
	s_waitcnt lgkmcnt(0)
	v_pk_mul_f32 v[4:5], v[6:7], v[70:71]
	v_mov_b32_e32 v85, v23
	ds_read2_b64 v[22:25], v140 offset1:170
	v_pk_fma_f32 v[6:7], v[176:177], v[70:71], v[4:5] op_sel:[0,0,1] op_sel_hi:[1,1,0]
	v_pk_fma_f32 v[4:5], v[176:177], v[70:71], v[4:5] op_sel:[0,0,1] op_sel_hi:[1,1,0] neg_lo:[0,0,1] neg_hi:[0,0,1]
	v_accvgpr_read_b32 v71, a9
	v_accvgpr_read_b32 v70, a8
	v_mov_b32_e32 v4, v67
	v_pk_mul_f32 v[60:61], v[70:71], v[66:67] op_sel_hi:[1,0]
	v_mov_b32_e32 v7, v5
	v_pk_fma_f32 v[4:5], v[70:71], v[4:5], v[60:61] op_sel:[0,0,1] op_sel_hi:[1,1,0] neg_lo:[0,0,1] neg_hi:[0,0,1]
	v_pk_fma_f32 v[60:61], v[70:71], v[66:67], v[60:61] op_sel:[0,1,1] op_sel_hi:[1,1,0]
	s_waitcnt lgkmcnt(0)
	v_pk_add_f32 v[6:7], v[24:25], v[6:7] neg_lo:[0,1] neg_hi:[0,1]
	v_mov_b32_e32 v5, v61
	v_pk_add_f32 v[4:5], v[90:91], v[4:5] neg_lo:[0,1] neg_hi:[0,1]
	v_pk_mul_f32 v[8:9], v[8:9], v[82:83]
	v_pk_add_f32 v[60:61], v[6:7], v[4:5]
	v_pk_add_f32 v[66:67], v[6:7], v[4:5] neg_lo:[0,1] neg_hi:[0,1]
	s_nop 0
	v_mov_b32_e32 v61, v67
	v_pk_fma_f32 v[66:67], v[174:175], v[82:83], v[8:9] op_sel:[0,0,1] op_sel_hi:[1,1,0]
	v_pk_fma_f32 v[8:9], v[174:175], v[82:83], v[8:9] op_sel:[0,0,1] op_sel_hi:[1,1,0] neg_lo:[0,0,1] neg_hi:[0,0,1]
	s_barrier
	v_mov_b32_e32 v67, v9
	v_pk_mul_f32 v[8:9], v[10:11], v[68:69]
	s_nop 0
	v_pk_fma_f32 v[10:11], v[172:173], v[68:69], v[8:9] op_sel:[0,0,1] op_sel_hi:[1,1,0]
	v_pk_fma_f32 v[8:9], v[172:173], v[68:69], v[8:9] op_sel:[0,0,1] op_sel_hi:[1,1,0] neg_lo:[0,0,1] neg_hi:[0,0,1]
	v_pk_fma_f32 v[4:5], v[90:91], 2.0, v[4:5] op_sel_hi:[1,0,1] neg_lo:[0,0,1] neg_hi:[0,0,1]
	v_mov_b32_e32 v11, v9
	v_accvgpr_read_b32 v8, a10
	v_accvgpr_read_b32 v9, a11
	v_pk_mul_f32 v[8:9], v[8:9], v[86:87]
	s_mov_b32 s2, 0x3f5db3d7
	v_pk_fma_f32 v[68:69], v[170:171], v[86:87], v[8:9] op_sel:[0,0,1] op_sel_hi:[1,1,0]
	v_pk_fma_f32 v[8:9], v[170:171], v[86:87], v[8:9] op_sel:[0,0,1] op_sel_hi:[1,1,0] neg_lo:[0,0,1] neg_hi:[0,0,1]
	v_mov_b32_e32 v14, v58
	v_mov_b32_e32 v69, v9
	v_pk_add_f32 v[8:9], v[22:23], v[10:11] neg_lo:[0,1] neg_hi:[0,1]
	v_mov_b32_e32 v15, v58
	v_pk_fma_f32 v[10:11], v[22:23], 2.0, v[8:9] op_sel_hi:[1,0,1] neg_lo:[0,0,1] neg_hi:[0,0,1]
	v_pk_add_f32 v[22:23], v[66:67], v[68:69] neg_lo:[0,1] neg_hi:[0,1]
	v_mov_b32_e32 v58, v59
	v_pk_fma_f32 v[66:67], v[66:67], 2.0, v[22:23] op_sel_hi:[1,0,1] neg_lo:[0,0,1] neg_hi:[0,0,1]
	v_pk_add_f32 v[68:69], v[8:9], v[22:23] op_sel:[0,1] op_sel_hi:[1,0]
	v_pk_add_f32 v[22:23], v[8:9], v[22:23] op_sel:[0,1] op_sel_hi:[1,0] neg_lo:[0,1] neg_hi:[0,1]
	v_pk_add_f32 v[66:67], v[10:11], v[66:67] neg_lo:[0,1] neg_hi:[0,1]
	v_mov_b32_e32 v69, v23
	v_pk_fma_f32 v[10:11], v[10:11], 2.0, v[66:67] op_sel_hi:[1,0,1] neg_lo:[0,0,1] neg_hi:[0,0,1]
	v_pk_fma_f32 v[8:9], v[8:9], 2.0, v[68:69] op_sel_hi:[1,0,1] neg_lo:[0,0,1] neg_hi:[0,0,1]
	v_accvgpr_read_b32 v22, a26
	ds_write2_b64 v22, v[10:11], v[8:9] offset1:17
	ds_write2_b64 v22, v[66:67], v[68:69] offset0:34 offset1:51
	v_pk_fma_f32 v[8:9], v[6:7], 2.0, v[60:61] op_sel_hi:[1,0,1] neg_lo:[0,0,1] neg_hi:[0,0,1]
	v_pk_fma_f32 v[6:7], v[24:25], 2.0, v[6:7] op_sel_hi:[1,0,1] neg_lo:[0,0,1] neg_hi:[0,0,1]
	v_accvgpr_read_b32 v10, a3
	v_pk_add_f32 v[4:5], v[6:7], v[4:5] op_sel:[0,1] op_sel_hi:[1,0] neg_lo:[0,1] neg_hi:[0,1]
	v_mov_b32_e32 v12, v54
	v_pk_fma_f32 v[6:7], v[6:7], 2.0, v[4:5] op_sel_hi:[1,0,1] neg_lo:[0,0,1] neg_hi:[0,0,1]
	ds_write2_b64 v10, v[6:7], v[8:9] offset1:17
	ds_write2_b64 v10, v[4:5], v[60:61] offset0:34 offset1:51
	v_pk_fma_f32 v[6:7], v[80:81], 2.0, v[26:27] op_sel_hi:[1,0,1] neg_lo:[0,0,1] neg_hi:[0,0,1]
	v_pk_fma_f32 v[8:9], v[88:89], 2.0, v[62:63] op_sel_hi:[1,0,1] neg_lo:[0,0,1] neg_hi:[0,0,1]
	;; [unrolled: 1-line block ×3, first 2 shown]
	v_pk_add_f32 v[8:9], v[6:7], v[8:9] op_sel:[0,1] op_sel_hi:[1,0] neg_lo:[0,1] neg_hi:[0,1]
	v_accvgpr_read_b32 v10, a1
	v_pk_fma_f32 v[6:7], v[6:7], 2.0, v[8:9] op_sel_hi:[1,0,1] neg_lo:[0,0,1] neg_hi:[0,0,1]
	ds_write2_b64 v10, v[6:7], v[4:5] offset1:17
	ds_write2_b64 v10, v[8:9], v[84:85] offset0:34 offset1:51
	s_waitcnt lgkmcnt(0)
	s_barrier
	ds_read2_b64 v[6:9], v64 offset0:60 offset1:230
	ds_read2_b64 v[24:27], v95 offset0:36 offset1:206
	;; [unrolled: 1-line block ×3, first 2 shown]
	v_mov_b32_e32 v13, v54
	v_mov_b32_e32 v54, v55
	;; [unrolled: 1-line block ×3, first 2 shown]
	s_waitcnt lgkmcnt(2)
	v_pk_mul_f32 v[10:11], v[40:41], v[8:9] op_sel:[1,0] op_sel_hi:[0,0]
	v_mov_b32_e32 v4, v9
	v_pk_fma_f32 v[8:9], v[40:41], v[8:9], v[10:11] op_sel:[0,1,0]
	v_pk_fma_f32 v[4:5], v[40:41], v[4:5], v[10:11] neg_lo:[0,0,1] neg_hi:[0,0,1]
	s_waitcnt lgkmcnt(1)
	v_mov_b32_e32 v8, v27
	v_pk_mul_f32 v[10:11], v[42:43], v[26:27] op_sel:[1,0] op_sel_hi:[0,0]
	v_pk_fma_f32 v[40:41], v[42:43], v[8:9], v[10:11] neg_lo:[0,0,1] neg_hi:[0,0,1]
	v_pk_fma_f32 v[10:11], v[42:43], v[26:27], v[10:11] op_sel:[0,1,0]
	v_mov_b32_e32 v42, v9
	v_mov_b32_e32 v41, v11
	;; [unrolled: 1-line block ×6, first 2 shown]
	v_pk_add_f32 v[8:9], v[42:43], v[10:11]
	v_pk_add_f32 v[26:27], v[4:5], v[40:41] neg_lo:[0,1] neg_hi:[0,1]
	s_waitcnt lgkmcnt(0)
	v_pk_fma_f32 v[8:9], v[8:9], 0.5, v[62:63] op_sel_hi:[1,0,1] neg_lo:[1,0,0] neg_hi:[1,0,0]
	v_mov_b32_e32 v3, v50
	v_pk_fma_f32 v[4:5], v[26:27], s[2:3], v[8:9] op_sel_hi:[1,0,1] neg_lo:[1,0,0] neg_hi:[1,0,0]
	v_pk_fma_f32 v[40:41], v[26:27], s[2:3], v[8:9] op_sel_hi:[1,0,1]
	v_pk_mul_f32 v[8:9], v[36:37], v[6:7]
	v_mov_b32_e32 v50, v51
	v_pk_fma_f32 v[66:67], v[168:169], v[6:7], v[8:9] op_sel:[0,0,1] op_sel_hi:[1,1,0]
	v_pk_fma_f32 v[6:7], v[168:169], v[6:7], v[8:9] op_sel:[0,0,1] op_sel_hi:[1,1,0] neg_lo:[0,0,1] neg_hi:[0,0,1]
	v_mov_b32_e32 v0, v46
	v_mov_b32_e32 v67, v7
	v_pk_mul_f32 v[6:7], v[38:39], v[24:25]
	v_mov_b32_e32 v1, v46
	v_pk_fma_f32 v[68:69], v[166:167], v[24:25], v[6:7] op_sel:[0,0,1] op_sel_hi:[1,1,0]
	v_pk_fma_f32 v[6:7], v[166:167], v[24:25], v[6:7] op_sel:[0,0,1] op_sel_hi:[1,1,0] neg_lo:[0,0,1] neg_hi:[0,0,1]
	v_mov_b32_e32 v46, v47
	v_mov_b32_e32 v69, v7
	v_pk_add_f32 v[6:7], v[66:67], v[68:69]
	v_mov_b32_e32 v20, v56
	v_pk_fma_f32 v[24:25], v[6:7], 0.5, v[60:61] op_sel_hi:[1,0,1] neg_lo:[1,0,0] neg_hi:[1,0,0]
	v_pk_add_f32 v[6:7], v[66:67], v[68:69] neg_lo:[0,1] neg_hi:[0,1]
	v_mov_b32_e32 v21, v56
	v_pk_mul_f32 v[26:27], v[6:7], s[2:3] op_sel_hi:[1,0]
	ds_read2_b64 v[6:9], v94 offset0:40 offset1:210
	v_pk_add_f32 v[70:71], v[24:25], v[26:27] op_sel:[0,1] op_sel_hi:[1,0]
	v_pk_add_f32 v[80:81], v[24:25], v[26:27] op_sel:[0,1] op_sel_hi:[1,0] neg_lo:[0,1] neg_hi:[0,1]
	ds_read2_b64 v[24:27], v140 offset1:170
	ds_read2_b64 v[36:39], v97 offset0:80 offset1:250
	s_waitcnt lgkmcnt(0)
	v_pk_mul_f32 v[32:33], v[32:33], v[8:9]
	v_pk_mul_f32 v[28:29], v[28:29], v[6:7]
	v_pk_fma_f32 v[82:83], v[164:165], v[8:9], v[32:33] op_sel:[0,0,1] op_sel_hi:[1,1,0]
	v_pk_fma_f32 v[8:9], v[164:165], v[8:9], v[32:33] op_sel:[0,0,1] op_sel_hi:[1,1,0] neg_lo:[0,0,1] neg_hi:[0,0,1]
	s_barrier
	v_mov_b32_e32 v83, v9
	v_pk_mul_f32 v[8:9], v[34:35], v[38:39]
	s_nop 0
	v_pk_fma_f32 v[32:33], v[162:163], v[38:39], v[8:9] op_sel:[0,0,1] op_sel_hi:[1,1,0]
	v_pk_fma_f32 v[8:9], v[162:163], v[38:39], v[8:9] op_sel:[0,0,1] op_sel_hi:[1,1,0] neg_lo:[0,0,1] neg_hi:[0,0,1]
	v_mov_b32_e32 v56, v57
	v_mov_b32_e32 v33, v9
	v_pk_add_f32 v[8:9], v[82:83], v[32:33]
	v_pk_add_f32 v[34:35], v[82:83], v[32:33] neg_lo:[0,1] neg_hi:[0,1]
	v_pk_fma_f32 v[8:9], v[8:9], 0.5, v[26:27] op_sel_hi:[1,0,1] neg_lo:[1,0,0] neg_hi:[1,0,0]
	v_pk_mul_f32 v[34:35], v[34:35], s[2:3] op_sel_hi:[1,0]
	v_mov_b32_e32 v18, v48
	v_pk_add_f32 v[38:39], v[8:9], v[34:35] op_sel:[0,1] op_sel_hi:[1,0]
	v_pk_add_f32 v[8:9], v[8:9], v[34:35] op_sel:[0,1] op_sel_hi:[1,0] neg_lo:[0,1] neg_hi:[0,1]
	v_pk_fma_f32 v[34:35], v[160:161], v[6:7], v[28:29] op_sel:[0,0,1] op_sel_hi:[1,1,0]
	v_pk_fma_f32 v[6:7], v[160:161], v[6:7], v[28:29] op_sel:[0,0,1] op_sel_hi:[1,1,0] neg_lo:[0,0,1] neg_hi:[0,0,1]
	v_mov_b32_e32 v19, v48
	v_mov_b32_e32 v35, v7
	v_pk_mul_f32 v[6:7], v[30:31], v[36:37]
	v_mov_b32_e32 v48, v49
	v_pk_fma_f32 v[28:29], v[158:159], v[36:37], v[6:7] op_sel:[0,0,1] op_sel_hi:[1,1,0]
	v_pk_fma_f32 v[6:7], v[158:159], v[36:37], v[6:7] op_sel:[0,0,1] op_sel_hi:[1,1,0] neg_lo:[0,0,1] neg_hi:[0,0,1]
	v_mov_b32_e32 v16, v44
	v_mov_b32_e32 v29, v7
	v_pk_add_f32 v[6:7], v[24:25], v[34:35]
	v_pk_add_f32 v[30:31], v[34:35], v[28:29]
	;; [unrolled: 1-line block ×3, first 2 shown]
	v_pk_add_f32 v[28:29], v[34:35], v[28:29] neg_lo:[0,1] neg_hi:[0,1]
	v_pk_fma_f32 v[24:25], v[30:31], 0.5, v[24:25] op_sel_hi:[1,0,1] neg_lo:[1,0,0] neg_hi:[1,0,0]
	v_pk_mul_f32 v[28:29], v[28:29], s[2:3] op_sel_hi:[1,0]
	v_mov_b32_e32 v17, v44
	v_pk_add_f32 v[30:31], v[24:25], v[28:29] op_sel:[0,1] op_sel_hi:[1,0] neg_lo:[0,1] neg_hi:[0,1]
	v_pk_add_f32 v[24:25], v[24:25], v[28:29] op_sel:[0,1] op_sel_hi:[1,0]
	v_mov_b32_e32 v28, v30
	v_mov_b32_e32 v29, v25
	v_accvgpr_read_b32 v30, a32
	ds_write2_b64 v30, v[6:7], v[28:29] offset1:68
	v_mov_b32_e32 v25, v31
	v_pk_add_f32 v[6:7], v[26:27], v[82:83]
	ds_write_b64 v30, v[24:25] offset:1088
	v_pk_add_f32 v[6:7], v[6:7], v[32:33]
	v_mov_b32_e32 v24, v8
	v_mov_b32_e32 v25, v39
	v_accvgpr_read_b32 v8, a31
	ds_write2_b64 v8, v[6:7], v[24:25] offset1:68
	v_mov_b32_e32 v39, v9
	v_pk_add_f32 v[6:7], v[60:61], v[66:67]
	ds_write_b64 v8, v[38:39] offset:1088
	v_pk_add_f32 v[6:7], v[6:7], v[68:69]
	v_mov_b32_e32 v8, v80
	v_mov_b32_e32 v9, v71
	v_accvgpr_read_b32 v24, a30
	ds_write2_b64 v24, v[6:7], v[8:9] offset1:68
	v_pk_add_f32 v[6:7], v[62:63], v[42:43]
	v_mov_b32_e32 v71, v81
	v_pk_add_f32 v[6:7], v[6:7], v[10:11]
	v_mov_b32_e32 v8, v4
	v_mov_b32_e32 v9, v41
	ds_write_b64 v24, v[70:71] offset:1088
	ds_write2_b64 v141, v[6:7], v[8:9] offset1:68
	v_mov_b32_e32 v6, v40
	v_mov_b32_e32 v7, v5
	v_add_u32_e32 v63, 0xc00, v140
	v_add_u32_e32 v62, 0x1800, v140
	;; [unrolled: 1-line block ×4, first 2 shown]
	ds_write_b64 v141, v[6:7] offset:1088
	s_waitcnt lgkmcnt(0)
	s_barrier
	ds_read2_b64 v[8:11], v140 offset1:204
	ds_read2_b64 v[36:39], v63 offset0:24 offset1:228
	ds_read2_b64 v[32:35], v62 offset0:48 offset1:252
	;; [unrolled: 1-line block ×4, first 2 shown]
	v_accvgpr_read_b32 v67, a35
	v_accvgpr_read_b32 v66, a34
	v_mov_b32_e32 v44, v45
	v_mov_b32_e32 v22, v52
	;; [unrolled: 1-line block ×7, first 2 shown]
	s_and_saveexec_b64 s[2:3], s[0:1]
	s_cbranch_execz .LBB0_19
; %bb.18:
	v_add_u32_e32 v4, 0x400, v140
	v_add_u32_e32 v40, 0x1200, v140
	ds_read2_b64 v[4:7], v4 offset0:42 offset1:246
	ds_read2_b64 v[76:79], v40 offset0:2 offset1:206
	;; [unrolled: 1-line block ×3, first 2 shown]
	v_add_u32_e32 v40, 0x2a00, v140
	ds_read2_b64 a[36:39], v40 offset0:50 offset1:254
	v_add_u32_e32 v40, 0x3800, v140
	ds_read2_b64 a[40:43], v40 offset0:10 offset1:214
	s_waitcnt lgkmcnt(4)
	v_mov_b32_e32 v41, v5
	v_mov_b32_e32 v40, v6
	;; [unrolled: 1-line block ×3, first 2 shown]
.LBB0_19:
	s_or_b64 exec, exec, s[2:3]
	s_waitcnt lgkmcnt(4)
	v_pk_mul_f32 v[6:7], v[56:57], v[10:11]
	s_waitcnt lgkmcnt(3)
	v_pk_mul_f32 v[56:57], v[58:59], v[36:37]
	v_pk_mul_f32 v[52:53], v[52:53], v[38:39]
	s_waitcnt lgkmcnt(2)
	v_pk_mul_f32 v[54:55], v[54:55], v[32:33]
	s_waitcnt lgkmcnt(1)
	;; [unrolled: 2-line block ×3, first 2 shown]
	v_pk_mul_f32 v[46:47], v[46:47], v[24:25]
	v_pk_fma_f32 v[64:65], v[20:21], v[10:11], v[6:7] op_sel:[0,0,1] op_sel_hi:[1,1,0]
	v_pk_fma_f32 v[6:7], v[20:21], v[10:11], v[6:7] op_sel:[0,0,1] op_sel_hi:[1,1,0] neg_lo:[0,0,1] neg_hi:[0,0,1]
	v_pk_fma_f32 v[10:11], v[14:15], v[36:37], v[56:57] op_sel:[0,0,1] op_sel_hi:[1,1,0]
	v_pk_fma_f32 v[14:15], v[14:15], v[36:37], v[56:57] op_sel:[0,0,1] op_sel_hi:[1,1,0] neg_lo:[0,0,1] neg_hi:[0,0,1]
	v_pk_mul_f32 v[48:49], v[48:49], v[34:35]
	v_pk_mul_f32 v[44:45], v[44:45], v[30:31]
	;; [unrolled: 1-line block ×3, first 2 shown]
	v_mov_b32_e32 v11, v15
	v_pk_fma_f32 v[14:15], v[22:23], v[38:39], v[52:53] op_sel:[0,0,1] op_sel_hi:[1,1,0]
	v_pk_fma_f32 v[20:21], v[22:23], v[38:39], v[52:53] op_sel:[0,0,1] op_sel_hi:[1,1,0] neg_lo:[0,0,1] neg_hi:[0,0,1]
	v_pk_fma_f32 v[22:23], v[12:13], v[32:33], v[54:55] op_sel:[0,0,1] op_sel_hi:[1,1,0]
	v_pk_fma_f32 v[12:13], v[12:13], v[32:33], v[54:55] op_sel:[0,0,1] op_sel_hi:[1,1,0] neg_lo:[0,0,1] neg_hi:[0,0,1]
	;; [unrolled: 2-line block ×4, first 2 shown]
	v_mov_b32_e32 v23, v13
	v_pk_fma_f32 v[12:13], v[18:19], v[34:35], v[48:49] op_sel:[0,0,1] op_sel_hi:[1,1,0]
	v_mov_b32_e32 v33, v3
	v_pk_fma_f32 v[2:3], v[16:17], v[30:31], v[44:45] op_sel:[0,0,1] op_sel_hi:[1,1,0]
	;; [unrolled: 2-line block ×3, first 2 shown]
	v_pk_fma_f32 v[24:25], v[42:43], v[26:27], v[58:59] op_sel:[0,0,1] op_sel_hi:[1,1,0] neg_lo:[0,0,1] neg_hi:[0,0,1]
	v_mov_b32_e32 v38, v14
	v_mov_b32_e32 v39, v0
	v_mov_b32_e32 v42, v12
	v_mov_b32_e32 v43, v2
	v_pk_fma_f32 v[18:19], v[18:19], v[34:35], v[48:49] op_sel:[0,0,1] op_sel_hi:[1,1,0] neg_lo:[0,0,1] neg_hi:[0,0,1]
	v_pk_fma_f32 v[16:17], v[16:17], v[30:31], v[44:45] op_sel:[0,0,1] op_sel_hi:[1,1,0] neg_lo:[0,0,1] neg_hi:[0,0,1]
	v_pk_add_f32 v[44:45], v[38:39], v[42:43] neg_lo:[0,1] neg_hi:[0,1]
	v_mov_b32_e32 v13, v19
	v_mov_b32_e32 v3, v17
	;; [unrolled: 1-line block ×5, first 2 shown]
	v_pk_add_f32 v[30:31], v[12:13], v[2:3]
	v_pk_add_f32 v[36:37], v[12:13], v[2:3] neg_lo:[0,1] neg_hi:[0,1]
	v_pk_add_f32 v[44:45], v[44:45], v[6:7]
	s_mov_b32 s2, 0x3e9e377a
	v_fma_f32 v16, -0.5, v30, v64
	v_pk_add_f32 v[34:35], v[14:15], v[0:1] neg_lo:[0,1] neg_hi:[0,1]
	v_mov_b32_e32 v45, v37
	s_mov_b32 s3, 0x3f167918
	v_fmamk_f32 v18, v35, 0xbf737871, v16
	v_pk_mul_f32 v[44:45], v[44:45], s[2:3]
	v_fmac_f32_e32 v16, 0x3f737871, v35
	v_add_f32_e32 v16, v45, v16
	v_pk_add_f32 v[38:39], v[42:43], v[38:39] neg_lo:[0,1] neg_hi:[0,1]
	v_sub_f32_e32 v6, v18, v45
	v_add_f32_e32 v18, v44, v16
	v_mov_b32_e32 v16, v39
	v_add_f32_e32 v6, v44, v6
	v_pk_add_f32 v[44:45], v[14:15], v[0:1]
	v_mov_b32_e32 v24, v64
	v_pk_add_f32 v[38:39], v[38:39], v[16:17]
	v_fmac_f32_e32 v24, -0.5, v44
	v_mov_b32_e32 v39, v35
	v_mov_b32_e32 v65, v7
	v_fmamk_f32 v20, v37, 0x3f737871, v24
	v_pk_mul_f32 v[38:39], v[38:39], s[2:3]
	v_fmac_f32_e32 v24, 0xbf737871, v37
	v_sub_f32_e32 v16, v20, v39
	v_pk_add_f32 v[14:15], v[64:65], v[14:15]
	v_add_f32_e32 v20, v38, v16
	v_add_f32_e32 v16, v39, v24
	v_pk_add_f32 v[12:13], v[14:15], v[12:13]
	v_add_f32_e32 v30, v38, v16
	v_pk_add_f32 v[2:3], v[12:13], v[2:3]
	v_mov_b32_e32 v24, v21
	v_mov_b32_e32 v16, v19
	v_pk_add_f32 v[0:1], v[2:3], v[0:1]
	v_pk_add_f32 v[2:3], v[24:25], v[16:17] neg_lo:[0,1] neg_hi:[0,1]
	v_fma_f32 v13, -0.5, v31, v7
	v_mov_b32_e32 v12, v3
	v_pk_add_f32 v[2:3], v[2:3], v[12:13]
	v_fmamk_f32 v14, v34, 0x3f737871, v13
	v_mov_b32_e32 v3, v36
	v_pk_mul_f32 v[2:3], v[2:3], s[2:3]
	v_fmac_f32_e32 v13, 0xbf737871, v34
	v_add_f32_e32 v12, v3, v14
	v_pk_add_f32 v[14:15], v[16:17], v[24:25] neg_lo:[0,1] neg_hi:[0,1]
	s_mov_b32 s11, 0x3f737871
	v_mov_b32_e32 v16, v15
	v_sub_f32_e32 v3, v13, v3
	v_fmac_f32_e32 v7, -0.5, v45
	v_pk_add_f32 v[14:15], v[14:15], v[16:17]
	v_add_f32_e32 v12, v2, v12
	v_add_f32_e32 v2, v2, v3
	v_fmamk_f32 v3, v36, 0xbf737871, v7
	v_mov_b32_e32 v15, v34
	v_fmac_f32_e32 v7, 0x3f737871, v36
	v_pk_add_f32 v[34:35], v[22:23], v[32:33]
	v_pk_add_f32 v[36:37], v[10:11], v[28:29] neg_lo:[0,1] neg_hi:[0,1]
	s_mov_b32 s20, s11
	v_pk_fma_f32 v[34:35], v[34:35], 0.5, v[8:9] op_sel_hi:[1,0,1] neg_lo:[1,0,0] neg_hi:[1,0,0]
	v_pk_mul_f32 v[38:39], v[36:37], s[20:21] op_sel_hi:[1,0]
	v_pk_add_f32 v[42:43], v[22:23], v[32:33] neg_lo:[0,1] neg_hi:[0,1]
	s_mov_b32 s22, s3
	v_pk_add_f32 v[46:47], v[10:11], v[22:23] neg_lo:[0,1] neg_hi:[0,1]
	v_pk_add_f32 v[48:49], v[28:29], v[32:33] neg_lo:[0,1] neg_hi:[0,1]
	s_mov_b32 s18, 0x3f4f1bbd
	v_pk_add_f32 v[26:27], v[8:9], v[10:11]
	v_pk_mul_f32 v[14:15], v[14:15], s[2:3]
	v_pk_mul_f32 v[44:45], v[42:43], s[22:23] op_sel_hi:[1,0]
	v_pk_add_f32 v[46:47], v[46:47], v[48:49]
	v_pk_add_f32 v[48:49], v[34:35], v[38:39] op_sel:[0,1] op_sel_hi:[1,0] neg_lo:[0,1] neg_hi:[0,1]
	v_pk_add_f32 v[34:35], v[34:35], v[38:39] op_sel:[0,1] op_sel_hi:[1,0]
	s_mov_b32 s14, s3
	s_mov_b32 s15, s18
	v_pk_add_f32 v[26:27], v[26:27], v[22:23]
	v_add_f32_e32 v3, v15, v3
	v_pk_add_f32 v[34:35], v[34:35], v[44:45] op_sel:[0,1] op_sel_hi:[1,0]
	v_pk_add_f32 v[38:39], v[48:49], v[44:45] op_sel:[0,1] op_sel_hi:[1,0] neg_lo:[0,1] neg_hi:[0,1]
	s_mov_b32 s19, s3
	v_pk_mul_f32 v[12:13], v[12:13], s[14:15] op_sel_hi:[0,1]
	v_pk_add_f32 v[26:27], v[26:27], v[32:33]
	v_add_f32_e32 v16, v14, v3
	v_sub_f32_e32 v3, v7, v15
	v_mov_b32_e32 v44, v38
	v_mov_b32_e32 v45, v35
	v_pk_fma_f32 v[48:49], v[6:7], s[18:19], v[12:13] neg_lo:[0,0,1] neg_hi:[0,0,1]
	v_pk_fma_f32 v[6:7], v[6:7], s[18:19], v[12:13] op_sel_hi:[0,1,1]
	v_pk_add_f32 v[26:27], v[26:27], v[28:29]
	v_pk_fma_f32 v[44:45], v[46:47], s[2:3], v[44:45] op_sel_hi:[1,0,1]
	v_mov_b32_e32 v49, v7
	v_pk_add_f32 v[24:25], v[26:27], v[0:1]
	v_pk_add_f32 v[6:7], v[44:45], v[48:49]
	ds_write2_b64 v140, v[24:25], v[6:7] offset1:204
	v_pk_add_f32 v[6:7], v[10:11], v[28:29]
	s_mov_b32 s16, s11
	v_pk_fma_f32 v[6:7], v[6:7], 0.5, v[8:9] op_sel_hi:[1,0,1] neg_lo:[1,0,0] neg_hi:[1,0,0]
	v_pk_add_f32 v[8:9], v[22:23], v[10:11] neg_lo:[0,1] neg_hi:[0,1]
	v_pk_add_f32 v[10:11], v[32:33], v[28:29] neg_lo:[0,1] neg_hi:[0,1]
	s_mov_b32 s17, s2
	v_pk_add_f32 v[8:9], v[8:9], v[10:11]
	s_mov_b32 s10, s2
	v_pk_mul_f32 v[10:11], v[16:17], s[16:17] op_sel_hi:[0,1]
	v_pk_fma_f32 v[12:13], v[20:21], s[10:11], v[10:11] neg_lo:[0,0,1] neg_hi:[0,0,1]
	v_pk_fma_f32 v[10:11], v[20:21], s[10:11], v[10:11] op_sel_hi:[0,1,1]
	v_mov_b32_e32 v13, v11
	v_pk_mul_f32 v[10:11], v[42:43], s[20:21] op_sel_hi:[1,0]
	v_pk_mul_f32 v[16:17], v[36:37], s[22:23] op_sel_hi:[1,0]
	v_pk_add_f32 v[20:21], v[6:7], v[10:11] op_sel:[0,1] op_sel_hi:[1,0]
	v_pk_add_f32 v[6:7], v[6:7], v[10:11] op_sel:[0,1] op_sel_hi:[1,0] neg_lo:[0,1] neg_hi:[0,1]
	v_add_f32_e32 v14, v14, v3
	v_pk_add_f32 v[6:7], v[6:7], v[16:17] op_sel:[0,1] op_sel_hi:[1,0]
	v_pk_add_f32 v[10:11], v[20:21], v[16:17] op_sel:[0,1] op_sel_hi:[1,0] neg_lo:[0,1] neg_hi:[0,1]
	v_mov_b32_e32 v17, v7
	v_mov_b32_e32 v16, v10
	s_mov_b32 s20, 0xbe9e377a
	s_mov_b32 s21, s11
	v_pk_mul_f32 v[14:15], v[14:15], s[16:17] op_sel_hi:[0,1]
	v_mov_b32_e32 v7, v11
	v_pk_fma_f32 v[16:17], v[8:9], s[2:3], v[16:17] op_sel_hi:[1,0,1]
	v_pk_fma_f32 v[14:15], v[30:31], s[20:21], v[14:15] op_sel_hi:[0,1,1] neg_lo:[0,0,1] neg_hi:[0,0,1]
	v_pk_fma_f32 v[6:7], v[8:9], s[2:3], v[6:7] op_sel_hi:[1,0,1]
	v_pk_add_f32 v[20:21], v[16:17], v[12:13]
	v_pk_add_f32 v[8:9], v[6:7], v[14:15]
	s_mov_b32 s22, 0xbf4f1bbd
	s_mov_b32 s23, s3
	v_pk_mul_f32 v[2:3], v[2:3], s[14:15] op_sel_hi:[0,1]
	v_mov_b32_e32 v35, v39
	ds_write2_b64 v63, v[20:21], v[8:9] offset0:24 offset1:228
	v_pk_fma_f32 v[2:3], v[18:19], s[22:23], v[2:3] op_sel_hi:[0,1,1] neg_lo:[0,0,1] neg_hi:[0,0,1]
	v_pk_fma_f32 v[8:9], v[46:47], s[2:3], v[34:35] op_sel_hi:[1,0,1]
	v_pk_add_f32 v[0:1], v[26:27], v[0:1] neg_lo:[0,1] neg_hi:[0,1]
	v_pk_add_f32 v[10:11], v[8:9], v[2:3]
	ds_write2_b64 v62, v[10:11], v[0:1] offset0:48 offset1:252
	v_pk_add_f32 v[0:1], v[44:45], v[48:49] neg_lo:[0,1] neg_hi:[0,1]
	v_pk_add_f32 v[10:11], v[16:17], v[12:13] neg_lo:[0,1] neg_hi:[0,1]
	ds_write2_b64 v61, v[0:1], v[10:11] offset0:8 offset1:212
	v_pk_add_f32 v[0:1], v[6:7], v[14:15] neg_lo:[0,1] neg_hi:[0,1]
	v_pk_add_f32 v[2:3], v[8:9], v[2:3] neg_lo:[0,1] neg_hi:[0,1]
	ds_write2_b64 v60, v[0:1], v[2:3] offset0:32 offset1:236
	s_and_saveexec_b64 s[24:25], s[0:1]
	s_cbranch_execz .LBB0_21
; %bb.20:
	v_accvgpr_read_b32 v45, a7
	v_accvgpr_read_b32 v44, a6
	;; [unrolled: 1-line block ×3, first 2 shown]
	v_pk_mul_f32 v[2:3], v[44:45], v[76:77] op_sel:[0,1]
	v_accvgpr_read_b32 v34, a22
	v_accvgpr_read_b32 v31, a15
	;; [unrolled: 1-line block ×3, first 2 shown]
	v_pk_mul_f32 v[6:7], v[34:35], v[72:73] op_sel:[0,1]
	v_accvgpr_read_b32 v30, a14
	v_accvgpr_read_b32 v51, a41
	;; [unrolled: 1-line block ×5, first 2 shown]
	v_pk_fma_f32 v[20:21], v[44:45], v[76:77], v[2:3] op_sel:[0,0,1] op_sel_hi:[1,1,0]
	v_pk_fma_f32 v[2:3], v[44:45], v[76:77], v[2:3] op_sel:[0,0,1] op_sel_hi:[1,0,0] neg_lo:[1,0,0] neg_hi:[1,0,0]
	v_pk_mul_f32 v[8:9], v[30:31], v[50:51] op_sel:[0,1]
	v_accvgpr_read_b32 v26, a18
	v_accvgpr_read_b32 v47, a37
	;; [unrolled: 1-line block ×4, first 2 shown]
	v_mov_b32_e32 v21, v3
	v_pk_fma_f32 v[2:3], v[34:35], v[72:73], v[6:7] op_sel:[0,0,1] op_sel_hi:[1,1,0]
	v_pk_fma_f32 v[6:7], v[34:35], v[72:73], v[6:7] op_sel:[0,0,1] op_sel_hi:[1,0,0] neg_lo:[1,0,0] neg_hi:[1,0,0]
	v_accvgpr_read_b32 v33, a21
	v_accvgpr_read_b32 v32, a20
	;; [unrolled: 1-line block ×8, first 2 shown]
	v_pk_mul_f32 v[10:11], v[26:27], v[46:47] op_sel:[0,1]
	v_accvgpr_read_b32 v36, a24
	v_mov_b32_e32 v3, v7
	v_pk_fma_f32 v[6:7], v[30:31], v[50:51], v[8:9] op_sel:[0,0,1] op_sel_hi:[1,1,0]
	v_pk_fma_f32 v[8:9], v[30:31], v[50:51], v[8:9] op_sel:[0,0,1] op_sel_hi:[1,0,0] neg_lo:[1,0,0] neg_hi:[1,0,0]
	v_pk_mul_f32 v[12:13], v[32:33], v[78:79] op_sel:[0,1]
	v_pk_mul_f32 v[14:15], v[24:25], v[74:75] op_sel:[0,1]
	;; [unrolled: 1-line block ×4, first 2 shown]
	v_mov_b32_e32 v7, v9
	v_pk_fma_f32 v[8:9], v[26:27], v[46:47], v[10:11] op_sel:[0,0,1] op_sel_hi:[1,1,0]
	v_pk_fma_f32 v[10:11], v[26:27], v[46:47], v[10:11] op_sel:[0,0,1] op_sel_hi:[1,0,0] neg_lo:[1,0,0] neg_hi:[1,0,0]
	v_pk_fma_f32 v[22:23], v[24:25], v[74:75], v[14:15] op_sel:[0,0,1] op_sel_hi:[1,1,0]
	v_mov_b32_e32 v9, v11
	v_pk_fma_f32 v[10:11], v[32:33], v[78:79], v[12:13] op_sel:[0,0,1] op_sel_hi:[1,1,0]
	v_pk_fma_f32 v[14:15], v[24:25], v[74:75], v[14:15] op_sel:[0,0,1] op_sel_hi:[1,0,0] neg_lo:[1,0,0] neg_hi:[1,0,0]
	v_pk_fma_f32 v[24:25], v[36:37], v[52:53], v[16:17] op_sel:[0,0,1] op_sel_hi:[1,1,0]
	v_pk_fma_f32 v[26:27], v[28:29], v[48:49], v[18:19] op_sel:[0,0,1] op_sel_hi:[1,1,0]
	v_pk_fma_f32 v[18:19], v[28:29], v[48:49], v[18:19] op_sel:[0,0,1] op_sel_hi:[1,0,0] neg_lo:[1,0,0] neg_hi:[1,0,0]
	v_mov_b32_e32 v28, v10
	v_mov_b32_e32 v29, v24
	;; [unrolled: 1-line block ×4, first 2 shown]
	v_pk_fma_f32 v[12:13], v[32:33], v[78:79], v[12:13] op_sel:[0,0,1] op_sel_hi:[1,0,0] neg_lo:[1,0,0] neg_hi:[1,0,0]
	v_pk_fma_f32 v[16:17], v[36:37], v[52:53], v[16:17] op_sel:[0,0,1] op_sel_hi:[1,0,0] neg_lo:[1,0,0] neg_hi:[1,0,0]
	v_pk_add_f32 v[32:33], v[28:29], v[30:31] neg_lo:[0,1] neg_hi:[0,1]
	v_mov_b32_e32 v0, v4
	v_accvgpr_read_b32 v43, a5
	v_accvgpr_read_b32 v42, a4
	v_mov_b32_e32 v4, v5
	v_mov_b32_e32 v12, v33
	;; [unrolled: 1-line block ×4, first 2 shown]
	v_pk_mul_f32 v[4:5], v[42:43], v[4:5] op_sel_hi:[1,0]
	v_mov_b32_e32 v11, v13
	v_mov_b32_e32 v25, v17
	v_pk_add_f32 v[32:33], v[32:33], v[12:13]
	v_pk_add_f32 v[12:13], v[16:17], v[18:19] neg_lo:[0,1] neg_hi:[0,1]
	v_pk_add_f32 v[28:29], v[30:31], v[28:29] neg_lo:[0,1] neg_hi:[0,1]
	;; [unrolled: 1-line block ×3, first 2 shown]
	v_mov_b32_e32 v23, v15
	v_mov_b32_e32 v27, v19
	v_pk_fma_f32 v[36:37], v[42:43], v[40:41], v[4:5] op_sel:[0,0,1] op_sel_hi:[1,0,0]
	v_pk_fma_f32 v[4:5], v[42:43], v[40:41], v[4:5] op_sel:[0,0,1] op_sel_hi:[1,0,0] neg_lo:[1,0,0] neg_hi:[1,0,0]
	v_mov_b32_e32 v30, v29
	v_mov_b32_e32 v18, v17
	v_pk_add_f32 v[34:35], v[22:23], v[26:27]
	v_mov_b32_e32 v37, v5
	v_pk_add_f32 v[38:39], v[10:11], v[24:25] neg_lo:[0,1] neg_hi:[0,1]
	v_mov_b32_e32 v14, v13
	v_pk_add_f32 v[28:29], v[28:29], v[30:31]
	v_pk_add_f32 v[30:31], v[10:11], v[24:25]
	;; [unrolled: 1-line block ×3, first 2 shown]
	v_mov_b32_e32 v1, v41
	v_pk_add_f32 v[40:41], v[22:23], v[26:27] neg_lo:[0,1] neg_hi:[0,1]
	v_pk_add_f32 v[12:13], v[12:13], v[14:15]
	v_fma_f32 v15, -0.5, v35, v5
	v_mov_b32_e32 v35, v36
	v_fmac_f32_e32 v5, -0.5, v31
	v_mov_b32_e32 v17, v38
	v_pk_add_f32 v[10:11], v[36:37], v[10:11]
	v_fma_f32 v34, -0.5, v34, v36
	v_mov_b32_e32 v33, v41
	v_mov_b32_e32 v29, v39
	v_fmac_f32_e32 v35, -0.5, v30
	v_fmamk_f32 v18, v40, 0x3f737871, v5
	v_pk_mul_f32 v[16:17], v[16:17], s[2:3]
	v_fmac_f32_e32 v5, 0xbf737871, v40
	v_pk_add_f32 v[10:11], v[10:11], v[22:23]
	v_fmamk_f32 v4, v39, 0x3f737871, v34
	v_pk_mul_f32 v[32:33], v[32:33], s[2:3]
	v_mov_b32_e32 v13, v40
	v_pk_mul_f32 v[28:29], v[28:29], s[2:3]
	v_fmamk_f32 v30, v41, 0xbf737871, v35
	v_sub_f32_e32 v18, v18, v17
	v_fmac_f32_e32 v35, 0x3f737871, v41
	v_add_f32_e32 v5, v17, v5
	v_fmac_f32_e32 v34, 0xbf737871, v39
	v_pk_add_f32 v[10:11], v[10:11], v[26:27]
	v_add_f32_e32 v4, v33, v4
	v_fmamk_f32 v14, v38, 0xbf737871, v15
	v_pk_mul_f32 v[12:13], v[12:13], s[2:3]
	v_add_f32_e32 v18, v16, v18
	v_sub_f32_e32 v19, v35, v29
	v_add_f32_e32 v16, v16, v5
	v_sub_f32_e32 v5, v34, v33
	v_fmac_f32_e32 v15, 0x3f737871, v38
	v_pk_add_f32 v[34:35], v[20:21], v[0:1]
	v_pk_add_f32 v[10:11], v[10:11], v[24:25]
	;; [unrolled: 1-line block ×3, first 2 shown]
	v_pk_add_f32 v[26:27], v[20:21], v[6:7] neg_lo:[0,1] neg_hi:[0,1]
	s_mov_b32 s0, s11
	v_add_f32_e32 v4, v32, v4
	v_sub_f32_e32 v14, v14, v13
	v_add_f32_e32 v32, v32, v5
	v_add_f32_e32 v5, v13, v15
	v_pk_add_f32 v[34:35], v[2:3], v[34:35]
	v_pk_fma_f32 v[24:25], v[24:25], 0.5, v[0:1] op_sel_hi:[1,0,1] neg_lo:[1,0,0] neg_hi:[1,0,0]
	v_pk_mul_f32 v[36:37], v[26:27], s[0:1] op_sel_hi:[1,0]
	v_pk_add_f32 v[38:39], v[2:3], v[8:9] neg_lo:[0,1] neg_hi:[0,1]
	s_mov_b32 s26, s3
	v_pk_add_f32 v[42:43], v[20:21], v[2:3] neg_lo:[0,1] neg_hi:[0,1]
	v_pk_add_f32 v[44:45], v[6:7], v[8:9] neg_lo:[0,1] neg_hi:[0,1]
	v_add_f32_e32 v14, v12, v14
	v_add_f32_e32 v12, v12, v5
	v_pk_add_f32 v[34:35], v[8:9], v[34:35]
	v_pk_mul_f32 v[40:41], v[38:39], s[26:27] op_sel_hi:[1,0]
	v_pk_add_f32 v[42:43], v[42:43], v[44:45]
	v_pk_add_f32 v[44:45], v[24:25], v[36:37] op_sel:[0,1] op_sel_hi:[1,0] neg_lo:[0,1] neg_hi:[0,1]
	v_pk_add_f32 v[24:25], v[24:25], v[36:37] op_sel:[0,1] op_sel_hi:[1,0]
	v_add_f32_e32 v30, v29, v30
	v_pk_add_f32 v[34:35], v[6:7], v[34:35]
	v_pk_add_f32 v[24:25], v[24:25], v[40:41] op_sel:[0,1] op_sel_hi:[1,0]
	v_pk_add_f32 v[36:37], v[44:45], v[40:41] op_sel:[0,1] op_sel_hi:[1,0] neg_lo:[0,1] neg_hi:[0,1]
	v_pk_mul_f32 v[12:13], v[12:13], s[14:15] op_sel_hi:[0,1]
	v_pk_add_f32 v[8:9], v[8:9], v[6:7] neg_lo:[0,1] neg_hi:[0,1]
	v_pk_add_f32 v[6:7], v[20:21], v[6:7]
	v_add_f32_e32 v30, v28, v30
	v_add_f32_e32 v28, v28, v19
	v_mov_b32_e32 v40, v36
	v_mov_b32_e32 v41, v25
	v_pk_fma_f32 v[44:45], v[32:33], s[18:19], v[12:13] neg_lo:[0,0,1] neg_hi:[0,0,1]
	v_pk_fma_f32 v[12:13], v[32:33], s[18:19], v[12:13] op_sel_hi:[0,1,1]
	v_pk_add_f32 v[2:3], v[2:3], v[20:21] neg_lo:[0,1] neg_hi:[0,1]
	v_pk_fma_f32 v[0:1], v[6:7], 0.5, v[0:1] op_sel_hi:[1,0,1] neg_lo:[1,0,0] neg_hi:[1,0,0]
	v_pk_mul_f32 v[6:7], v[16:17], s[16:17] op_sel_hi:[0,1]
	v_pk_fma_f32 v[40:41], v[42:43], s[2:3], v[40:41] op_sel_hi:[1,0,1]
	v_mov_b32_e32 v45, v13
	v_pk_add_f32 v[2:3], v[2:3], v[8:9]
	v_pk_fma_f32 v[8:9], v[28:29], s[10:11], v[6:7] neg_lo:[0,0,1] neg_hi:[0,0,1]
	v_pk_fma_f32 v[6:7], v[28:29], s[10:11], v[6:7] op_sel_hi:[0,1,1]
	v_pk_add_f32 v[22:23], v[10:11], v[34:35]
	v_pk_add_f32 v[12:13], v[40:41], v[44:45]
	v_add_u32_e32 v5, 0x400, v140
	v_mov_b32_e32 v9, v7
	v_pk_mul_f32 v[6:7], v[38:39], s[0:1] op_sel_hi:[1,0]
	ds_write2_b64 v5, v[22:23], v[12:13] offset0:42 offset1:246
	v_pk_mul_f32 v[12:13], v[26:27], s[26:27] op_sel_hi:[1,0]
	v_pk_add_f32 v[16:17], v[0:1], v[6:7] op_sel:[0,1] op_sel_hi:[1,0]
	v_pk_add_f32 v[0:1], v[0:1], v[6:7] op_sel:[0,1] op_sel_hi:[1,0] neg_lo:[0,1] neg_hi:[0,1]
	v_pk_add_f32 v[6:7], v[16:17], v[12:13] op_sel:[0,1] op_sel_hi:[1,0] neg_lo:[0,1] neg_hi:[0,1]
	v_pk_add_f32 v[0:1], v[0:1], v[12:13] op_sel:[0,1] op_sel_hi:[1,0]
	v_mov_b32_e32 v12, v6
	v_mov_b32_e32 v13, v1
	v_pk_mul_f32 v[18:19], v[18:19], s[16:17] op_sel_hi:[0,1]
	v_mov_b32_e32 v1, v7
	v_pk_fma_f32 v[12:13], v[2:3], s[2:3], v[12:13] op_sel_hi:[1,0,1]
	v_pk_fma_f32 v[18:19], v[30:31], s[20:21], v[18:19] op_sel_hi:[0,1,1] neg_lo:[0,0,1] neg_hi:[0,0,1]
	v_pk_fma_f32 v[0:1], v[2:3], s[2:3], v[0:1] op_sel_hi:[1,0,1]
	v_pk_add_f32 v[16:17], v[12:13], v[8:9]
	v_pk_add_f32 v[2:3], v[0:1], v[18:19]
	v_add_u32_e32 v5, 0x1200, v140
	ds_write2_b64 v5, v[16:17], v[2:3] offset0:2 offset1:206
	v_pk_mul_f32 v[2:3], v[14:15], s[14:15] op_sel_hi:[0,1]
	v_mov_b32_e32 v25, v37
	v_pk_fma_f32 v[2:3], v[4:5], s[22:23], v[2:3] op_sel_hi:[0,1,1] neg_lo:[0,0,1] neg_hi:[0,0,1]
	v_pk_fma_f32 v[4:5], v[42:43], s[2:3], v[24:25] op_sel_hi:[1,0,1]
	v_pk_add_f32 v[10:11], v[34:35], v[10:11] neg_lo:[0,1] neg_hi:[0,1]
	v_pk_add_f32 v[6:7], v[4:5], v[2:3]
	v_add_u32_e32 v14, 0x1e00, v140
	ds_write2_b64 v14, v[6:7], v[10:11] offset0:26 offset1:230
	v_pk_add_f32 v[6:7], v[40:41], v[44:45] neg_lo:[0,1] neg_hi:[0,1]
	v_pk_add_f32 v[8:9], v[12:13], v[8:9] neg_lo:[0,1] neg_hi:[0,1]
	v_add_u32_e32 v10, 0x2a00, v140
	v_pk_add_f32 v[0:1], v[0:1], v[18:19] neg_lo:[0,1] neg_hi:[0,1]
	v_pk_add_f32 v[2:3], v[4:5], v[2:3] neg_lo:[0,1] neg_hi:[0,1]
	v_add_u32_e32 v4, 0x3800, v140
	ds_write2_b64 v10, v[6:7], v[8:9] offset0:50 offset1:254
	ds_write2_b64 v4, v[0:1], v[2:3] offset0:10 offset1:214
.LBB0_21:
	s_or_b64 exec, exec, s[24:25]
	s_and_b64 s[0:1], exec, vcc
	v_accvgpr_read_b32 v16, a0
	s_waitcnt lgkmcnt(0)
	s_barrier
	s_mov_b64 exec, s[0:1]
	s_cbranch_execz .LBB0_23
; %bb.22:
	global_load_dwordx2 v[2:3], v110, s[8:9]
	v_accvgpr_read_b32 v14, a2
	ds_read_b64 v[6:7], v140
	v_mad_u64_u32 v[4:5], s[0:1], s6, v14, 0
	v_mov_b32_e32 v10, v5
	v_mad_u64_u32 v[10:11], s[2:3], s7, v14, v[10:11]
	v_mov_b32_e32 v0, s12
	v_mov_b32_e32 v1, s13
	;; [unrolled: 1-line block ×3, first 2 shown]
	v_mad_u64_u32 v[8:9], s[2:3], s4, v16, 0
	v_lshl_add_u64 v[0:1], v[4:5], 3, v[0:1]
	s_mov_b32 s0, 0x10101010
	v_mov_b32_e32 v12, v9
	s_mov_b32 s1, 0x3f401010
	v_mad_u64_u32 v[12:13], s[2:3], s5, v16, v[12:13]
	v_mov_b32_e32 v9, v12
	v_lshl_add_u64 v[8:9], v[8:9], 3, v[0:1]
	v_mov_b32_e32 v14, 0x3c0
	s_mul_i32 s2, s5, 0x3c0
	v_mov_b32_e32 v111, 0
	s_movk_i32 s3, 0x1000
	s_waitcnt vmcnt(0) lgkmcnt(0)
	v_mul_f32_e32 v4, v7, v3
	v_mul_f32_e32 v3, v6, v3
	v_fmac_f32_e32 v4, v6, v2
	v_fma_f32 v5, v2, v7, -v3
	v_cvt_f64_f32_e32 v[2:3], v4
	v_cvt_f64_f32_e32 v[4:5], v5
	v_mul_f64 v[2:3], v[2:3], s[0:1]
	v_mul_f64 v[4:5], v[4:5], s[0:1]
	v_cvt_f32_f64_e32 v2, v[2:3]
	v_cvt_f32_f64_e32 v3, v[4:5]
	global_store_dwordx2 v[8:9], v[2:3], off
	global_load_dwordx2 v[6:7], v110, s[8:9] offset:960
	ds_read2_b64 v[2:5], v110 offset0:120 offset1:240
	v_mad_u64_u32 v[8:9], s[6:7], s4, v14, v[8:9]
	v_add_u32_e32 v9, s2, v9
	s_waitcnt vmcnt(0) lgkmcnt(0)
	v_mul_f32_e32 v10, v3, v7
	v_mul_f32_e32 v7, v2, v7
	v_fmac_f32_e32 v10, v2, v6
	v_fma_f32 v6, v6, v3, -v7
	v_cvt_f64_f32_e32 v[2:3], v10
	v_cvt_f64_f32_e32 v[6:7], v6
	v_mul_f64 v[2:3], v[2:3], s[0:1]
	v_mul_f64 v[6:7], v[6:7], s[0:1]
	v_cvt_f32_f64_e32 v2, v[2:3]
	v_cvt_f32_f64_e32 v3, v[6:7]
	global_store_dwordx2 v[8:9], v[2:3], off
	global_load_dwordx2 v[2:3], v110, s[8:9] offset:1920
	v_mad_u64_u32 v[6:7], s[6:7], s4, v14, v[8:9]
	v_add_u32_e32 v7, s2, v7
	s_waitcnt vmcnt(0)
	v_mul_f32_e32 v8, v5, v3
	v_mul_f32_e32 v3, v4, v3
	v_fmac_f32_e32 v8, v4, v2
	v_fma_f32 v4, v2, v5, -v3
	v_cvt_f64_f32_e32 v[2:3], v8
	v_cvt_f64_f32_e32 v[4:5], v4
	v_mul_f64 v[2:3], v[2:3], s[0:1]
	v_mul_f64 v[4:5], v[4:5], s[0:1]
	v_cvt_f32_f64_e32 v2, v[2:3]
	v_cvt_f32_f64_e32 v3, v[4:5]
	global_store_dwordx2 v[6:7], v[2:3], off
	global_load_dwordx2 v[8:9], v110, s[8:9] offset:2880
	v_add_u32_e32 v2, 0x800, v110
	ds_read2_b64 v[2:5], v2 offset0:104 offset1:224
	v_mad_u64_u32 v[6:7], s[6:7], s4, v14, v[6:7]
	v_add_u32_e32 v7, s2, v7
	v_mad_u64_u32 v[12:13], s[6:7], s4, v14, v[6:7]
	v_add_u32_e32 v13, s2, v13
	s_waitcnt vmcnt(0) lgkmcnt(0)
	v_mul_f32_e32 v10, v3, v9
	v_mul_f32_e32 v9, v2, v9
	v_fmac_f32_e32 v10, v2, v8
	v_fma_f32 v8, v8, v3, -v9
	v_cvt_f64_f32_e32 v[2:3], v10
	v_cvt_f64_f32_e32 v[8:9], v8
	v_mul_f64 v[2:3], v[2:3], s[0:1]
	v_mul_f64 v[8:9], v[8:9], s[0:1]
	v_cvt_f32_f64_e32 v2, v[2:3]
	v_cvt_f32_f64_e32 v3, v[8:9]
	global_store_dwordx2 v[6:7], v[2:3], off
	global_load_dwordx2 v[8:9], v110, s[8:9] offset:3840
	v_lshl_add_u64 v[2:3], s[8:9], 0, v[110:111]
	v_add_co_u32_e32 v10, vcc, s3, v2
	s_movk_i32 s3, 0x2000
	s_nop 0
	v_addc_co_u32_e32 v11, vcc, 0, v3, vcc
	s_waitcnt vmcnt(0)
	v_mul_f32_e32 v6, v5, v9
	v_mul_f32_e32 v7, v4, v9
	v_fmac_f32_e32 v6, v4, v8
	v_fma_f32 v7, v8, v5, -v7
	v_cvt_f64_f32_e32 v[4:5], v6
	v_cvt_f64_f32_e32 v[6:7], v7
	v_mul_f64 v[4:5], v[4:5], s[0:1]
	v_mul_f64 v[6:7], v[6:7], s[0:1]
	v_cvt_f32_f64_e32 v4, v[4:5]
	v_cvt_f32_f64_e32 v5, v[6:7]
	global_store_dwordx2 v[12:13], v[4:5], off
	global_load_dwordx2 v[8:9], v[10:11], off offset:704
	v_add_u32_e32 v4, 0x1000, v110
	ds_read2_b64 v[4:7], v4 offset0:88 offset1:208
	v_mad_u64_u32 v[12:13], s[6:7], s4, v14, v[12:13]
	v_add_u32_e32 v13, s2, v13
	s_waitcnt vmcnt(0) lgkmcnt(0)
	v_mul_f32_e32 v15, v5, v9
	v_mul_f32_e32 v9, v4, v9
	v_fmac_f32_e32 v15, v4, v8
	v_fma_f32 v8, v8, v5, -v9
	v_cvt_f64_f32_e32 v[4:5], v15
	v_cvt_f64_f32_e32 v[8:9], v8
	v_mul_f64 v[4:5], v[4:5], s[0:1]
	v_mul_f64 v[8:9], v[8:9], s[0:1]
	v_cvt_f32_f64_e32 v4, v[4:5]
	v_cvt_f32_f64_e32 v5, v[8:9]
	global_store_dwordx2 v[12:13], v[4:5], off
	global_load_dwordx2 v[4:5], v[10:11], off offset:1664
	v_mad_u64_u32 v[8:9], s[6:7], s4, v14, v[12:13]
	v_add_u32_e32 v9, s2, v9
	s_waitcnt vmcnt(0)
	v_mul_f32_e32 v12, v7, v5
	v_mul_f32_e32 v5, v6, v5
	v_fmac_f32_e32 v12, v6, v4
	v_fma_f32 v6, v4, v7, -v5
	v_cvt_f64_f32_e32 v[4:5], v12
	v_cvt_f64_f32_e32 v[6:7], v6
	v_mul_f64 v[4:5], v[4:5], s[0:1]
	v_mul_f64 v[6:7], v[6:7], s[0:1]
	v_cvt_f32_f64_e32 v4, v[4:5]
	v_cvt_f32_f64_e32 v5, v[6:7]
	global_store_dwordx2 v[8:9], v[4:5], off
	global_load_dwordx2 v[12:13], v[10:11], off offset:2624
	v_add_u32_e32 v4, 0x1800, v110
	ds_read2_b64 v[4:7], v4 offset0:72 offset1:192
	v_mad_u64_u32 v[8:9], s[6:7], s4, v14, v[8:9]
	v_add_u32_e32 v9, s2, v9
	s_waitcnt vmcnt(0) lgkmcnt(0)
	v_mul_f32_e32 v15, v5, v13
	v_mul_f32_e32 v13, v4, v13
	v_fmac_f32_e32 v15, v4, v12
	v_fma_f32 v12, v12, v5, -v13
	v_cvt_f64_f32_e32 v[4:5], v15
	v_cvt_f64_f32_e32 v[12:13], v12
	v_mul_f64 v[4:5], v[4:5], s[0:1]
	v_mul_f64 v[12:13], v[12:13], s[0:1]
	v_cvt_f32_f64_e32 v4, v[4:5]
	v_cvt_f32_f64_e32 v5, v[12:13]
	global_store_dwordx2 v[8:9], v[4:5], off
	global_load_dwordx2 v[4:5], v[10:11], off offset:3584
	v_mad_u64_u32 v[8:9], s[6:7], s4, v14, v[8:9]
	v_add_co_u32_e32 v10, vcc, s3, v2
	v_add_u32_e32 v9, s2, v9
	s_nop 0
	v_addc_co_u32_e32 v11, vcc, 0, v3, vcc
	s_movk_i32 s3, 0x3000
	s_waitcnt vmcnt(0)
	v_mul_f32_e32 v12, v7, v5
	v_mul_f32_e32 v5, v6, v5
	v_fmac_f32_e32 v12, v6, v4
	v_fma_f32 v6, v4, v7, -v5
	v_cvt_f64_f32_e32 v[4:5], v12
	v_cvt_f64_f32_e32 v[6:7], v6
	v_mul_f64 v[4:5], v[4:5], s[0:1]
	v_mul_f64 v[6:7], v[6:7], s[0:1]
	v_cvt_f32_f64_e32 v4, v[4:5]
	v_cvt_f32_f64_e32 v5, v[6:7]
	global_store_dwordx2 v[8:9], v[4:5], off
	global_load_dwordx2 v[12:13], v[10:11], off offset:448
	v_add_u32_e32 v4, 0x2000, v110
	ds_read2_b64 v[4:7], v4 offset0:56 offset1:176
	v_mad_u64_u32 v[8:9], s[6:7], s4, v14, v[8:9]
	v_add_u32_e32 v9, s2, v9
	s_waitcnt vmcnt(0) lgkmcnt(0)
	v_mul_f32_e32 v15, v5, v13
	v_mul_f32_e32 v13, v4, v13
	v_fmac_f32_e32 v15, v4, v12
	v_fma_f32 v12, v12, v5, -v13
	v_cvt_f64_f32_e32 v[4:5], v15
	v_cvt_f64_f32_e32 v[12:13], v12
	v_mul_f64 v[4:5], v[4:5], s[0:1]
	v_mul_f64 v[12:13], v[12:13], s[0:1]
	v_cvt_f32_f64_e32 v4, v[4:5]
	v_cvt_f32_f64_e32 v5, v[12:13]
	global_store_dwordx2 v[8:9], v[4:5], off
	global_load_dwordx2 v[4:5], v[10:11], off offset:1408
	v_mad_u64_u32 v[8:9], s[6:7], s4, v14, v[8:9]
	v_add_u32_e32 v9, s2, v9
	s_waitcnt vmcnt(0)
	v_mul_f32_e32 v12, v7, v5
	v_mul_f32_e32 v5, v6, v5
	v_fmac_f32_e32 v12, v6, v4
	v_fma_f32 v6, v4, v7, -v5
	v_cvt_f64_f32_e32 v[4:5], v12
	v_cvt_f64_f32_e32 v[6:7], v6
	v_mul_f64 v[4:5], v[4:5], s[0:1]
	v_mul_f64 v[6:7], v[6:7], s[0:1]
	v_cvt_f32_f64_e32 v4, v[4:5]
	v_cvt_f32_f64_e32 v5, v[6:7]
	global_store_dwordx2 v[8:9], v[4:5], off
	global_load_dwordx2 v[12:13], v[10:11], off offset:2368
	v_add_u32_e32 v4, 0x2800, v110
	ds_read2_b64 v[4:7], v4 offset0:40 offset1:160
	v_mad_u64_u32 v[8:9], s[6:7], s4, v14, v[8:9]
	v_add_u32_e32 v9, s2, v9
	s_waitcnt vmcnt(0) lgkmcnt(0)
	v_mul_f32_e32 v15, v5, v13
	v_mul_f32_e32 v13, v4, v13
	v_fmac_f32_e32 v15, v4, v12
	v_fma_f32 v12, v12, v5, -v13
	v_cvt_f64_f32_e32 v[4:5], v15
	v_cvt_f64_f32_e32 v[12:13], v12
	v_mul_f64 v[4:5], v[4:5], s[0:1]
	v_mul_f64 v[12:13], v[12:13], s[0:1]
	v_cvt_f32_f64_e32 v4, v[4:5]
	v_cvt_f32_f64_e32 v5, v[12:13]
	global_store_dwordx2 v[8:9], v[4:5], off
	global_load_dwordx2 v[4:5], v[10:11], off offset:3328
	v_add_co_u32_e32 v10, vcc, s3, v2
	v_mad_u64_u32 v[8:9], s[6:7], s4, v14, v[8:9]
	s_nop 0
	v_addc_co_u32_e32 v11, vcc, 0, v3, vcc
	v_add_u32_e32 v9, s2, v9
	s_waitcnt vmcnt(0)
	v_mul_f32_e32 v2, v7, v5
	v_mul_f32_e32 v3, v6, v5
	v_fmac_f32_e32 v2, v6, v4
	v_fma_f32 v4, v4, v7, -v3
	v_cvt_f64_f32_e32 v[2:3], v2
	v_cvt_f64_f32_e32 v[4:5], v4
	v_mul_f64 v[2:3], v[2:3], s[0:1]
	v_mul_f64 v[4:5], v[4:5], s[0:1]
	v_cvt_f32_f64_e32 v2, v[2:3]
	v_cvt_f32_f64_e32 v3, v[4:5]
	global_store_dwordx2 v[8:9], v[2:3], off
	global_load_dwordx2 v[6:7], v[10:11], off offset:192
	v_add_u32_e32 v2, 0x3000, v110
	ds_read2_b64 v[2:5], v2 offset0:24 offset1:144
	v_mad_u64_u32 v[8:9], s[6:7], s4, v14, v[8:9]
	v_add_u32_e32 v9, s2, v9
	s_waitcnt vmcnt(0) lgkmcnt(0)
	v_mul_f32_e32 v12, v3, v7
	v_mul_f32_e32 v7, v2, v7
	v_fmac_f32_e32 v12, v2, v6
	v_fma_f32 v6, v6, v3, -v7
	v_cvt_f64_f32_e32 v[2:3], v12
	v_cvt_f64_f32_e32 v[6:7], v6
	v_mul_f64 v[2:3], v[2:3], s[0:1]
	v_mul_f64 v[6:7], v[6:7], s[0:1]
	v_cvt_f32_f64_e32 v2, v[2:3]
	v_cvt_f32_f64_e32 v3, v[6:7]
	global_store_dwordx2 v[8:9], v[2:3], off
	global_load_dwordx2 v[2:3], v[10:11], off offset:1152
	v_mad_u64_u32 v[6:7], s[6:7], s4, v14, v[8:9]
	v_add_u32_e32 v7, s2, v7
	s_waitcnt vmcnt(0)
	v_mul_f32_e32 v8, v5, v3
	v_mul_f32_e32 v3, v4, v3
	v_fmac_f32_e32 v8, v4, v2
	v_fma_f32 v4, v2, v5, -v3
	v_cvt_f64_f32_e32 v[2:3], v8
	v_cvt_f64_f32_e32 v[4:5], v4
	v_mul_f64 v[2:3], v[2:3], s[0:1]
	v_mul_f64 v[4:5], v[4:5], s[0:1]
	v_cvt_f32_f64_e32 v2, v[2:3]
	v_cvt_f32_f64_e32 v3, v[4:5]
	global_store_dwordx2 v[6:7], v[2:3], off
	global_load_dwordx2 v[8:9], v[10:11], off offset:2112
	v_add_u32_e32 v2, 0x3800, v110
	ds_read2_b64 v[2:5], v2 offset0:8 offset1:128
	v_mad_u64_u32 v[6:7], s[6:7], s4, v14, v[6:7]
	v_or_b32_e32 v10, 0x780, v16
	v_add_u32_e32 v7, s2, v7
	v_lshlrev_b32_e32 v11, 3, v10
	s_waitcnt vmcnt(0) lgkmcnt(0)
	v_mul_f32_e32 v12, v3, v9
	v_mul_f32_e32 v9, v2, v9
	v_fmac_f32_e32 v12, v2, v8
	v_fma_f32 v8, v8, v3, -v9
	v_cvt_f64_f32_e32 v[2:3], v12
	v_cvt_f64_f32_e32 v[8:9], v8
	v_mul_f64 v[2:3], v[2:3], s[0:1]
	v_mul_f64 v[8:9], v[8:9], s[0:1]
	v_cvt_f32_f64_e32 v2, v[2:3]
	v_cvt_f32_f64_e32 v3, v[8:9]
	global_store_dwordx2 v[6:7], v[2:3], off
	global_load_dwordx2 v[2:3], v11, s[8:9]
	v_mad_u64_u32 v[6:7], s[2:3], s4, v10, 0
	v_mov_b32_e32 v8, v7
	v_mad_u64_u32 v[8:9], s[2:3], s5, v10, v[8:9]
	v_mov_b32_e32 v7, v8
	v_lshl_add_u64 v[0:1], v[6:7], 3, v[0:1]
	s_waitcnt vmcnt(0)
	v_mul_f32_e32 v8, v5, v3
	v_mul_f32_e32 v3, v4, v3
	v_fmac_f32_e32 v8, v4, v2
	v_fma_f32 v4, v2, v5, -v3
	v_cvt_f64_f32_e32 v[2:3], v8
	v_cvt_f64_f32_e32 v[4:5], v4
	v_mul_f64 v[2:3], v[2:3], s[0:1]
	v_mul_f64 v[4:5], v[4:5], s[0:1]
	v_cvt_f32_f64_e32 v2, v[2:3]
	v_cvt_f32_f64_e32 v3, v[4:5]
	global_store_dwordx2 v[0:1], v[2:3], off
.LBB0_23:
	s_endpgm
	.section	.rodata,"a",@progbits
	.p2align	6, 0x0
	.amdhsa_kernel bluestein_single_back_len2040_dim1_sp_op_CI_CI
		.amdhsa_group_segment_fixed_size 16320
		.amdhsa_private_segment_fixed_size 0
		.amdhsa_kernarg_size 104
		.amdhsa_user_sgpr_count 2
		.amdhsa_user_sgpr_dispatch_ptr 0
		.amdhsa_user_sgpr_queue_ptr 0
		.amdhsa_user_sgpr_kernarg_segment_ptr 1
		.amdhsa_user_sgpr_dispatch_id 0
		.amdhsa_user_sgpr_kernarg_preload_length 0
		.amdhsa_user_sgpr_kernarg_preload_offset 0
		.amdhsa_user_sgpr_private_segment_size 0
		.amdhsa_uses_dynamic_stack 0
		.amdhsa_enable_private_segment 0
		.amdhsa_system_sgpr_workgroup_id_x 1
		.amdhsa_system_sgpr_workgroup_id_y 0
		.amdhsa_system_sgpr_workgroup_id_z 0
		.amdhsa_system_sgpr_workgroup_info 0
		.amdhsa_system_vgpr_workitem_id 0
		.amdhsa_next_free_vgpr 358
		.amdhsa_next_free_sgpr 72
		.amdhsa_accum_offset 256
		.amdhsa_reserve_vcc 1
		.amdhsa_float_round_mode_32 0
		.amdhsa_float_round_mode_16_64 0
		.amdhsa_float_denorm_mode_32 3
		.amdhsa_float_denorm_mode_16_64 3
		.amdhsa_dx10_clamp 1
		.amdhsa_ieee_mode 1
		.amdhsa_fp16_overflow 0
		.amdhsa_tg_split 0
		.amdhsa_exception_fp_ieee_invalid_op 0
		.amdhsa_exception_fp_denorm_src 0
		.amdhsa_exception_fp_ieee_div_zero 0
		.amdhsa_exception_fp_ieee_overflow 0
		.amdhsa_exception_fp_ieee_underflow 0
		.amdhsa_exception_fp_ieee_inexact 0
		.amdhsa_exception_int_div_zero 0
	.end_amdhsa_kernel
	.text
.Lfunc_end0:
	.size	bluestein_single_back_len2040_dim1_sp_op_CI_CI, .Lfunc_end0-bluestein_single_back_len2040_dim1_sp_op_CI_CI
                                        ; -- End function
	.section	.AMDGPU.csdata,"",@progbits
; Kernel info:
; codeLenInByte = 23416
; NumSgprs: 78
; NumVgprs: 256
; NumAgprs: 102
; TotalNumVgprs: 358
; ScratchSize: 0
; MemoryBound: 0
; FloatMode: 240
; IeeeMode: 1
; LDSByteSize: 16320 bytes/workgroup (compile time only)
; SGPRBlocks: 9
; VGPRBlocks: 44
; NumSGPRsForWavesPerEU: 78
; NumVGPRsForWavesPerEU: 358
; AccumOffset: 256
; Occupancy: 1
; WaveLimiterHint : 1
; COMPUTE_PGM_RSRC2:SCRATCH_EN: 0
; COMPUTE_PGM_RSRC2:USER_SGPR: 2
; COMPUTE_PGM_RSRC2:TRAP_HANDLER: 0
; COMPUTE_PGM_RSRC2:TGID_X_EN: 1
; COMPUTE_PGM_RSRC2:TGID_Y_EN: 0
; COMPUTE_PGM_RSRC2:TGID_Z_EN: 0
; COMPUTE_PGM_RSRC2:TIDIG_COMP_CNT: 0
; COMPUTE_PGM_RSRC3_GFX90A:ACCUM_OFFSET: 63
; COMPUTE_PGM_RSRC3_GFX90A:TG_SPLIT: 0
	.text
	.p2alignl 6, 3212836864
	.fill 256, 4, 3212836864
	.type	__hip_cuid_12cd0ca4b48cee0e,@object ; @__hip_cuid_12cd0ca4b48cee0e
	.section	.bss,"aw",@nobits
	.globl	__hip_cuid_12cd0ca4b48cee0e
__hip_cuid_12cd0ca4b48cee0e:
	.byte	0                               ; 0x0
	.size	__hip_cuid_12cd0ca4b48cee0e, 1

	.ident	"AMD clang version 19.0.0git (https://github.com/RadeonOpenCompute/llvm-project roc-6.4.0 25133 c7fe45cf4b819c5991fe208aaa96edf142730f1d)"
	.section	".note.GNU-stack","",@progbits
	.addrsig
	.addrsig_sym __hip_cuid_12cd0ca4b48cee0e
	.amdgpu_metadata
---
amdhsa.kernels:
  - .agpr_count:     102
    .args:
      - .actual_access:  read_only
        .address_space:  global
        .offset:         0
        .size:           8
        .value_kind:     global_buffer
      - .actual_access:  read_only
        .address_space:  global
        .offset:         8
        .size:           8
        .value_kind:     global_buffer
      - .actual_access:  read_only
        .address_space:  global
        .offset:         16
        .size:           8
        .value_kind:     global_buffer
      - .actual_access:  read_only
        .address_space:  global
        .offset:         24
        .size:           8
        .value_kind:     global_buffer
      - .actual_access:  read_only
        .address_space:  global
        .offset:         32
        .size:           8
        .value_kind:     global_buffer
      - .offset:         40
        .size:           8
        .value_kind:     by_value
      - .address_space:  global
        .offset:         48
        .size:           8
        .value_kind:     global_buffer
      - .address_space:  global
        .offset:         56
        .size:           8
        .value_kind:     global_buffer
      - .address_space:  global
        .offset:         64
        .size:           8
        .value_kind:     global_buffer
      - .address_space:  global
        .offset:         72
        .size:           8
        .value_kind:     global_buffer
      - .offset:         80
        .size:           4
        .value_kind:     by_value
      - .address_space:  global
        .offset:         88
        .size:           8
        .value_kind:     global_buffer
      - .address_space:  global
        .offset:         96
        .size:           8
        .value_kind:     global_buffer
    .group_segment_fixed_size: 16320
    .kernarg_segment_align: 8
    .kernarg_segment_size: 104
    .language:       OpenCL C
    .language_version:
      - 2
      - 0
    .max_flat_workgroup_size: 170
    .name:           bluestein_single_back_len2040_dim1_sp_op_CI_CI
    .private_segment_fixed_size: 0
    .sgpr_count:     78
    .sgpr_spill_count: 0
    .symbol:         bluestein_single_back_len2040_dim1_sp_op_CI_CI.kd
    .uniform_work_group_size: 1
    .uses_dynamic_stack: false
    .vgpr_count:     358
    .vgpr_spill_count: 0
    .wavefront_size: 64
amdhsa.target:   amdgcn-amd-amdhsa--gfx950
amdhsa.version:
  - 1
  - 2
...

	.end_amdgpu_metadata
